;; amdgpu-corpus repo=ROCm/rocFFT kind=compiled arch=gfx1201 opt=O3
	.text
	.amdgcn_target "amdgcn-amd-amdhsa--gfx1201"
	.amdhsa_code_object_version 6
	.protected	fft_rtc_fwd_len1440_factors_10_16_3_3_wgs_90_tpt_90_halfLds_sp_op_CI_CI_unitstride_sbrr_R2C_dirReg ; -- Begin function fft_rtc_fwd_len1440_factors_10_16_3_3_wgs_90_tpt_90_halfLds_sp_op_CI_CI_unitstride_sbrr_R2C_dirReg
	.globl	fft_rtc_fwd_len1440_factors_10_16_3_3_wgs_90_tpt_90_halfLds_sp_op_CI_CI_unitstride_sbrr_R2C_dirReg
	.p2align	8
	.type	fft_rtc_fwd_len1440_factors_10_16_3_3_wgs_90_tpt_90_halfLds_sp_op_CI_CI_unitstride_sbrr_R2C_dirReg,@function
fft_rtc_fwd_len1440_factors_10_16_3_3_wgs_90_tpt_90_halfLds_sp_op_CI_CI_unitstride_sbrr_R2C_dirReg: ; @fft_rtc_fwd_len1440_factors_10_16_3_3_wgs_90_tpt_90_halfLds_sp_op_CI_CI_unitstride_sbrr_R2C_dirReg
; %bb.0:
	s_clause 0x2
	s_load_b128 s[8:11], s[0:1], 0x0
	s_load_b128 s[4:7], s[0:1], 0x58
	;; [unrolled: 1-line block ×3, first 2 shown]
	v_mul_u32_u24_e32 v1, 0x2d9, v0
	v_mov_b32_e32 v3, 0
	s_delay_alu instid0(VALU_DEP_2) | instskip(NEXT) | instid1(VALU_DEP_1)
	v_lshrrev_b32_e32 v1, 16, v1
	v_add_nc_u32_e32 v5, ttmp9, v1
	v_mov_b32_e32 v1, 0
	v_mov_b32_e32 v2, 0
	;; [unrolled: 1-line block ×3, first 2 shown]
	s_wait_kmcnt 0x0
	v_cmp_lt_u64_e64 s2, s[10:11], 2
	s_delay_alu instid0(VALU_DEP_1)
	s_and_b32 vcc_lo, exec_lo, s2
	s_cbranch_vccnz .LBB0_8
; %bb.1:
	s_load_b64 s[2:3], s[0:1], 0x10
	v_mov_b32_e32 v1, 0
	v_mov_b32_e32 v2, 0
	s_add_nc_u64 s[16:17], s[14:15], 8
	s_add_nc_u64 s[18:19], s[12:13], 8
	s_mov_b64 s[20:21], 1
	s_delay_alu instid0(VALU_DEP_1)
	v_dual_mov_b32 v41, v2 :: v_dual_mov_b32 v40, v1
	s_wait_kmcnt 0x0
	s_add_nc_u64 s[22:23], s[2:3], 8
	s_mov_b32 s3, 0
.LBB0_2:                                ; =>This Inner Loop Header: Depth=1
	s_load_b64 s[24:25], s[22:23], 0x0
                                        ; implicit-def: $vgpr46_vgpr47
	s_mov_b32 s2, exec_lo
	s_wait_kmcnt 0x0
	v_or_b32_e32 v4, s25, v6
	s_delay_alu instid0(VALU_DEP_1)
	v_cmpx_ne_u64_e32 0, v[3:4]
	s_wait_alu 0xfffe
	s_xor_b32 s26, exec_lo, s2
	s_cbranch_execz .LBB0_4
; %bb.3:                                ;   in Loop: Header=BB0_2 Depth=1
	s_cvt_f32_u32 s2, s24
	s_cvt_f32_u32 s27, s25
	s_sub_nc_u64 s[30:31], 0, s[24:25]
	s_wait_alu 0xfffe
	s_delay_alu instid0(SALU_CYCLE_1) | instskip(SKIP_1) | instid1(SALU_CYCLE_2)
	s_fmamk_f32 s2, s27, 0x4f800000, s2
	s_wait_alu 0xfffe
	v_s_rcp_f32 s2, s2
	s_delay_alu instid0(TRANS32_DEP_1) | instskip(SKIP_1) | instid1(SALU_CYCLE_2)
	s_mul_f32 s2, s2, 0x5f7ffffc
	s_wait_alu 0xfffe
	s_mul_f32 s27, s2, 0x2f800000
	s_wait_alu 0xfffe
	s_delay_alu instid0(SALU_CYCLE_2) | instskip(SKIP_1) | instid1(SALU_CYCLE_2)
	s_trunc_f32 s27, s27
	s_wait_alu 0xfffe
	s_fmamk_f32 s2, s27, 0xcf800000, s2
	s_cvt_u32_f32 s29, s27
	s_wait_alu 0xfffe
	s_delay_alu instid0(SALU_CYCLE_1) | instskip(SKIP_1) | instid1(SALU_CYCLE_2)
	s_cvt_u32_f32 s28, s2
	s_wait_alu 0xfffe
	s_mul_u64 s[34:35], s[30:31], s[28:29]
	s_wait_alu 0xfffe
	s_mul_hi_u32 s37, s28, s35
	s_mul_i32 s36, s28, s35
	s_mul_hi_u32 s2, s28, s34
	s_mul_i32 s33, s29, s34
	s_wait_alu 0xfffe
	s_add_nc_u64 s[36:37], s[2:3], s[36:37]
	s_mul_hi_u32 s27, s29, s34
	s_mul_hi_u32 s38, s29, s35
	s_add_co_u32 s2, s36, s33
	s_wait_alu 0xfffe
	s_add_co_ci_u32 s2, s37, s27
	s_mul_i32 s34, s29, s35
	s_add_co_ci_u32 s35, s38, 0
	s_wait_alu 0xfffe
	s_add_nc_u64 s[34:35], s[2:3], s[34:35]
	s_wait_alu 0xfffe
	v_add_co_u32 v4, s2, s28, s34
	s_delay_alu instid0(VALU_DEP_1) | instskip(SKIP_1) | instid1(VALU_DEP_1)
	s_cmp_lg_u32 s2, 0
	s_add_co_ci_u32 s29, s29, s35
	v_readfirstlane_b32 s28, v4
	s_wait_alu 0xfffe
	s_delay_alu instid0(VALU_DEP_1)
	s_mul_u64 s[30:31], s[30:31], s[28:29]
	s_wait_alu 0xfffe
	s_mul_hi_u32 s35, s28, s31
	s_mul_i32 s34, s28, s31
	s_mul_hi_u32 s2, s28, s30
	s_mul_i32 s33, s29, s30
	s_wait_alu 0xfffe
	s_add_nc_u64 s[34:35], s[2:3], s[34:35]
	s_mul_hi_u32 s27, s29, s30
	s_mul_hi_u32 s28, s29, s31
	s_wait_alu 0xfffe
	s_add_co_u32 s2, s34, s33
	s_add_co_ci_u32 s2, s35, s27
	s_mul_i32 s30, s29, s31
	s_add_co_ci_u32 s31, s28, 0
	s_wait_alu 0xfffe
	s_add_nc_u64 s[30:31], s[2:3], s[30:31]
	s_wait_alu 0xfffe
	v_add_co_u32 v4, s2, v4, s30
	s_delay_alu instid0(VALU_DEP_1) | instskip(SKIP_1) | instid1(VALU_DEP_1)
	s_cmp_lg_u32 s2, 0
	s_add_co_ci_u32 s2, s29, s31
	v_mul_hi_u32 v13, v5, v4
	s_wait_alu 0xfffe
	v_mad_co_u64_u32 v[7:8], null, v5, s2, 0
	v_mad_co_u64_u32 v[9:10], null, v6, v4, 0
	;; [unrolled: 1-line block ×3, first 2 shown]
	s_delay_alu instid0(VALU_DEP_3) | instskip(SKIP_1) | instid1(VALU_DEP_4)
	v_add_co_u32 v4, vcc_lo, v13, v7
	s_wait_alu 0xfffd
	v_add_co_ci_u32_e32 v7, vcc_lo, 0, v8, vcc_lo
	s_delay_alu instid0(VALU_DEP_2) | instskip(SKIP_1) | instid1(VALU_DEP_2)
	v_add_co_u32 v4, vcc_lo, v4, v9
	s_wait_alu 0xfffd
	v_add_co_ci_u32_e32 v4, vcc_lo, v7, v10, vcc_lo
	s_wait_alu 0xfffd
	v_add_co_ci_u32_e32 v7, vcc_lo, 0, v12, vcc_lo
	s_delay_alu instid0(VALU_DEP_2) | instskip(SKIP_1) | instid1(VALU_DEP_2)
	v_add_co_u32 v4, vcc_lo, v4, v11
	s_wait_alu 0xfffd
	v_add_co_ci_u32_e32 v9, vcc_lo, 0, v7, vcc_lo
	s_delay_alu instid0(VALU_DEP_2) | instskip(SKIP_1) | instid1(VALU_DEP_3)
	v_mul_lo_u32 v10, s25, v4
	v_mad_co_u64_u32 v[7:8], null, s24, v4, 0
	v_mul_lo_u32 v11, s24, v9
	s_delay_alu instid0(VALU_DEP_2) | instskip(NEXT) | instid1(VALU_DEP_2)
	v_sub_co_u32 v7, vcc_lo, v5, v7
	v_add3_u32 v8, v8, v11, v10
	s_delay_alu instid0(VALU_DEP_1) | instskip(SKIP_1) | instid1(VALU_DEP_1)
	v_sub_nc_u32_e32 v10, v6, v8
	s_wait_alu 0xfffd
	v_subrev_co_ci_u32_e64 v10, s2, s25, v10, vcc_lo
	v_add_co_u32 v11, s2, v4, 2
	s_wait_alu 0xf1ff
	v_add_co_ci_u32_e64 v12, s2, 0, v9, s2
	v_sub_co_u32 v13, s2, v7, s24
	v_sub_co_ci_u32_e32 v8, vcc_lo, v6, v8, vcc_lo
	s_wait_alu 0xf1ff
	v_subrev_co_ci_u32_e64 v10, s2, 0, v10, s2
	s_delay_alu instid0(VALU_DEP_3) | instskip(NEXT) | instid1(VALU_DEP_3)
	v_cmp_le_u32_e32 vcc_lo, s24, v13
	v_cmp_eq_u32_e64 s2, s25, v8
	s_wait_alu 0xfffd
	v_cndmask_b32_e64 v13, 0, -1, vcc_lo
	v_cmp_le_u32_e32 vcc_lo, s25, v10
	s_wait_alu 0xfffd
	v_cndmask_b32_e64 v14, 0, -1, vcc_lo
	v_cmp_le_u32_e32 vcc_lo, s24, v7
	;; [unrolled: 3-line block ×3, first 2 shown]
	s_wait_alu 0xfffd
	v_cndmask_b32_e64 v15, 0, -1, vcc_lo
	v_cmp_eq_u32_e32 vcc_lo, s25, v10
	s_wait_alu 0xf1ff
	s_delay_alu instid0(VALU_DEP_2)
	v_cndmask_b32_e64 v7, v15, v7, s2
	s_wait_alu 0xfffd
	v_cndmask_b32_e32 v10, v14, v13, vcc_lo
	v_add_co_u32 v13, vcc_lo, v4, 1
	s_wait_alu 0xfffd
	v_add_co_ci_u32_e32 v14, vcc_lo, 0, v9, vcc_lo
	s_delay_alu instid0(VALU_DEP_3) | instskip(SKIP_1) | instid1(VALU_DEP_2)
	v_cmp_ne_u32_e32 vcc_lo, 0, v10
	s_wait_alu 0xfffd
	v_cndmask_b32_e32 v8, v14, v12, vcc_lo
	v_cndmask_b32_e32 v10, v13, v11, vcc_lo
	v_cmp_ne_u32_e32 vcc_lo, 0, v7
	s_wait_alu 0xfffd
	s_delay_alu instid0(VALU_DEP_2)
	v_dual_cndmask_b32 v47, v9, v8 :: v_dual_cndmask_b32 v46, v4, v10
.LBB0_4:                                ;   in Loop: Header=BB0_2 Depth=1
	s_wait_alu 0xfffe
	s_and_not1_saveexec_b32 s2, s26
	s_cbranch_execz .LBB0_6
; %bb.5:                                ;   in Loop: Header=BB0_2 Depth=1
	v_cvt_f32_u32_e32 v4, s24
	s_sub_co_i32 s26, 0, s24
	v_mov_b32_e32 v47, v3
	s_delay_alu instid0(VALU_DEP_2) | instskip(NEXT) | instid1(TRANS32_DEP_1)
	v_rcp_iflag_f32_e32 v4, v4
	v_mul_f32_e32 v4, 0x4f7ffffe, v4
	s_delay_alu instid0(VALU_DEP_1) | instskip(SKIP_1) | instid1(VALU_DEP_1)
	v_cvt_u32_f32_e32 v4, v4
	s_wait_alu 0xfffe
	v_mul_lo_u32 v7, s26, v4
	s_delay_alu instid0(VALU_DEP_1) | instskip(NEXT) | instid1(VALU_DEP_1)
	v_mul_hi_u32 v7, v4, v7
	v_add_nc_u32_e32 v4, v4, v7
	s_delay_alu instid0(VALU_DEP_1) | instskip(NEXT) | instid1(VALU_DEP_1)
	v_mul_hi_u32 v4, v5, v4
	v_mul_lo_u32 v7, v4, s24
	v_add_nc_u32_e32 v8, 1, v4
	s_delay_alu instid0(VALU_DEP_2) | instskip(NEXT) | instid1(VALU_DEP_1)
	v_sub_nc_u32_e32 v7, v5, v7
	v_subrev_nc_u32_e32 v9, s24, v7
	v_cmp_le_u32_e32 vcc_lo, s24, v7
	s_wait_alu 0xfffd
	s_delay_alu instid0(VALU_DEP_2) | instskip(NEXT) | instid1(VALU_DEP_1)
	v_dual_cndmask_b32 v7, v7, v9 :: v_dual_cndmask_b32 v4, v4, v8
	v_cmp_le_u32_e32 vcc_lo, s24, v7
	s_delay_alu instid0(VALU_DEP_2) | instskip(SKIP_1) | instid1(VALU_DEP_1)
	v_add_nc_u32_e32 v8, 1, v4
	s_wait_alu 0xfffd
	v_cndmask_b32_e32 v46, v4, v8, vcc_lo
.LBB0_6:                                ;   in Loop: Header=BB0_2 Depth=1
	s_wait_alu 0xfffe
	s_or_b32 exec_lo, exec_lo, s2
	v_mul_lo_u32 v4, v47, s24
	s_delay_alu instid0(VALU_DEP_2)
	v_mul_lo_u32 v9, v46, s25
	s_load_b64 s[26:27], s[18:19], 0x0
	v_mad_co_u64_u32 v[7:8], null, v46, s24, 0
	s_load_b64 s[24:25], s[16:17], 0x0
	s_add_nc_u64 s[20:21], s[20:21], 1
	s_add_nc_u64 s[16:17], s[16:17], 8
	s_wait_alu 0xfffe
	v_cmp_ge_u64_e64 s2, s[20:21], s[10:11]
	s_add_nc_u64 s[18:19], s[18:19], 8
	s_add_nc_u64 s[22:23], s[22:23], 8
	v_add3_u32 v4, v8, v9, v4
	v_sub_co_u32 v5, vcc_lo, v5, v7
	s_wait_alu 0xfffd
	s_delay_alu instid0(VALU_DEP_2) | instskip(SKIP_2) | instid1(VALU_DEP_1)
	v_sub_co_ci_u32_e32 v4, vcc_lo, v6, v4, vcc_lo
	s_and_b32 vcc_lo, exec_lo, s2
	s_wait_kmcnt 0x0
	v_mul_lo_u32 v6, s26, v4
	v_mul_lo_u32 v7, s27, v5
	v_mad_co_u64_u32 v[1:2], null, s26, v5, v[1:2]
	v_mul_lo_u32 v4, s24, v4
	v_mul_lo_u32 v8, s25, v5
	v_mad_co_u64_u32 v[40:41], null, s24, v5, v[40:41]
	s_delay_alu instid0(VALU_DEP_4) | instskip(NEXT) | instid1(VALU_DEP_2)
	v_add3_u32 v2, v7, v2, v6
	v_add3_u32 v41, v8, v41, v4
	s_wait_alu 0xfffe
	s_cbranch_vccnz .LBB0_9
; %bb.7:                                ;   in Loop: Header=BB0_2 Depth=1
	v_dual_mov_b32 v5, v46 :: v_dual_mov_b32 v6, v47
	s_branch .LBB0_2
.LBB0_8:
	v_dual_mov_b32 v41, v2 :: v_dual_mov_b32 v40, v1
	v_dual_mov_b32 v47, v6 :: v_dual_mov_b32 v46, v5
.LBB0_9:
	s_load_b64 s[0:1], s[0:1], 0x28
	v_mul_hi_u32 v3, 0x2d82d83, v0
	s_lshl_b64 s[10:11], s[10:11], 3
                                        ; implicit-def: $vgpr42
                                        ; implicit-def: $vgpr44
	s_wait_kmcnt 0x0
	v_cmp_gt_u64_e32 vcc_lo, s[0:1], v[46:47]
	v_cmp_le_u64_e64 s0, s[0:1], v[46:47]
	s_delay_alu instid0(VALU_DEP_1)
	s_and_saveexec_b32 s1, s0
	s_wait_alu 0xfffe
	s_xor_b32 s0, exec_lo, s1
; %bb.10:
	v_mul_u32_u24_e32 v1, 0x5a, v3
                                        ; implicit-def: $vgpr3
	s_delay_alu instid0(VALU_DEP_1) | instskip(NEXT) | instid1(VALU_DEP_1)
	v_sub_nc_u32_e32 v42, v0, v1
                                        ; implicit-def: $vgpr0
                                        ; implicit-def: $vgpr1_vgpr2
	v_add_nc_u32_e32 v44, 0x5a, v42
; %bb.11:
	s_wait_alu 0xfffe
	s_or_saveexec_b32 s1, s0
	s_add_nc_u64 s[2:3], s[14:15], s[10:11]
	s_wait_alu 0xfffe
	s_xor_b32 exec_lo, exec_lo, s1
	s_cbranch_execz .LBB0_13
; %bb.12:
	s_add_nc_u64 s[10:11], s[12:13], s[10:11]
	v_lshlrev_b64_e32 v[1:2], 3, v[1:2]
	s_load_b64 s[10:11], s[10:11], 0x0
	s_wait_kmcnt 0x0
	v_mul_lo_u32 v6, s11, v46
	v_mul_lo_u32 v7, s10, v47
	v_mad_co_u64_u32 v[4:5], null, s10, v46, 0
	s_delay_alu instid0(VALU_DEP_1) | instskip(SKIP_1) | instid1(VALU_DEP_2)
	v_add3_u32 v5, v5, v7, v6
	v_mul_u32_u24_e32 v6, 0x5a, v3
	v_lshlrev_b64_e32 v[3:4], 3, v[4:5]
	s_delay_alu instid0(VALU_DEP_2) | instskip(NEXT) | instid1(VALU_DEP_1)
	v_sub_nc_u32_e32 v42, v0, v6
	v_lshlrev_b32_e32 v32, 3, v42
	s_delay_alu instid0(VALU_DEP_3) | instskip(SKIP_1) | instid1(VALU_DEP_4)
	v_add_co_u32 v0, s0, s4, v3
	s_wait_alu 0xf1ff
	v_add_co_ci_u32_e64 v3, s0, s5, v4, s0
	v_add_nc_u32_e32 v44, 0x5a, v42
	s_delay_alu instid0(VALU_DEP_3) | instskip(SKIP_1) | instid1(VALU_DEP_3)
	v_add_co_u32 v0, s0, v0, v1
	s_wait_alu 0xf1ff
	v_add_co_ci_u32_e64 v1, s0, v3, v2, s0
	s_delay_alu instid0(VALU_DEP_2) | instskip(SKIP_1) | instid1(VALU_DEP_2)
	v_add_co_u32 v0, s0, v0, v32
	s_wait_alu 0xf1ff
	v_add_co_ci_u32_e64 v1, s0, 0, v1, s0
	s_clause 0xf
	global_load_b64 v[2:3], v[0:1], off
	global_load_b64 v[4:5], v[0:1], off offset:720
	global_load_b64 v[6:7], v[0:1], off offset:1440
	;; [unrolled: 1-line block ×15, first 2 shown]
	v_add_nc_u32_e32 v32, 0, v32
	s_delay_alu instid0(VALU_DEP_1)
	v_add_nc_u32_e32 v33, 0x400, v32
	v_add_nc_u32_e32 v34, 0x800, v32
	;; [unrolled: 1-line block ×7, first 2 shown]
	s_wait_loadcnt 0xe
	ds_store_2addr_b64 v32, v[2:3], v[4:5] offset1:90
	s_wait_loadcnt 0xc
	ds_store_2addr_b64 v33, v[6:7], v[8:9] offset0:52 offset1:142
	s_wait_loadcnt 0xa
	ds_store_2addr_b64 v34, v[10:11], v[12:13] offset0:104 offset1:194
	;; [unrolled: 2-line block ×7, first 2 shown]
.LBB0_13:
	s_or_b32 exec_lo, exec_lo, s1
	v_lshl_add_u32 v48, v42, 3, 0
	s_load_b64 s[2:3], s[2:3], 0x0
	global_wb scope:SCOPE_SE
	s_wait_dscnt 0x0
	s_wait_kmcnt 0x0
	s_barrier_signal -1
	s_barrier_wait -1
	v_add_nc_u32_e32 v0, 0x800, v48
	v_add_nc_u32_e32 v43, 0x1000, v48
	;; [unrolled: 1-line block ×4, first 2 shown]
	global_inv scope:SCOPE_SE
	ds_load_2addr_b64 v[16:19], v48 offset1:90
	ds_load_2addr_b64 v[24:27], v0 offset0:32 offset1:122
	ds_load_2addr_b64 v[8:11], v43 offset0:64 offset1:154
	ds_load_2addr_b64 v[4:7], v45 offset0:96 offset1:186
	ds_load_2addr_b64 v[0:3], v49 offset0:128 offset1:218
	v_add_nc_u32_e32 v50, 0xc00, v48
	v_add_nc_u32_e32 v13, 0x2800, v48
	s_mov_b32 s1, exec_lo
	s_wait_dscnt 0x3
	v_add_f32_e32 v61, v17, v25
	s_wait_dscnt 0x1
	v_sub_f32_e32 v55, v9, v5
	s_wait_dscnt 0x0
	v_dual_add_f32 v53, v8, v4 :: v_dual_sub_f32 v54, v25, v1
	v_sub_f32_e32 v57, v0, v4
	v_dual_sub_f32 v59, v8, v24 :: v_dual_add_f32 v62, v9, v5
	s_delay_alu instid0(VALU_DEP_3) | instskip(SKIP_3) | instid1(VALU_DEP_3)
	v_fma_f32 v63, -0.5, v53, v16
	v_sub_f32_e32 v56, v24, v8
	v_add_nc_u32_e32 v12, 0x1c00, v48
	v_add_f32_e32 v52, v16, v24
	v_add_f32_e32 v53, v56, v57
	v_dual_fmamk_f32 v57, v54, 0x3f737871, v63 :: v_dual_add_f32 v58, v24, v0
	v_dual_fmac_f32 v63, 0xbf737871, v54 :: v_dual_sub_f32 v60, v4, v0
	s_delay_alu instid0(VALU_DEP_2) | instskip(NEXT) | instid1(VALU_DEP_3)
	v_dual_fmac_f32 v57, 0x3f167918, v55 :: v_dual_add_f32 v52, v52, v8
	v_fma_f32 v56, -0.5, v58, v16
	s_delay_alu instid0(VALU_DEP_3) | instskip(NEXT) | instid1(VALU_DEP_3)
	v_dual_add_f32 v58, v61, v9 :: v_dual_fmac_f32 v63, 0xbf167918, v55
	v_dual_fmac_f32 v57, 0x3e9e377a, v53 :: v_dual_add_f32 v52, v52, v4
	v_add_nc_u32_e32 v51, 0x1400, v48
	s_delay_alu instid0(VALU_DEP_3) | instskip(NEXT) | instid1(VALU_DEP_3)
	v_dual_add_f32 v16, v59, v60 :: v_dual_fmac_f32 v63, 0x3e9e377a, v53
	v_dual_add_f32 v53, v25, v1 :: v_dual_add_f32 v52, v52, v0
	v_sub_f32_e32 v0, v24, v0
	v_add_f32_e32 v24, v58, v5
	v_sub_f32_e32 v4, v8, v4
	v_sub_f32_e32 v8, v25, v9
	ds_load_2addr_b64 v[32:35], v48 offset0:144 offset1:234
	ds_load_2addr_b64 v[36:39], v50 offset0:48 offset1:138
	;; [unrolled: 1-line block ×5, first 2 shown]
	v_fmamk_f32 v60, v55, 0xbf737871, v56
	v_fmac_f32_e32 v56, 0x3f737871, v55
	v_fma_f32 v55, -0.5, v62, v17
	v_fma_f32 v62, -0.5, v53, v17
	s_delay_alu instid0(VALU_DEP_4) | instskip(NEXT) | instid1(VALU_DEP_4)
	v_dual_add_f32 v17, v24, v1 :: v_dual_fmac_f32 v60, 0x3f167918, v54
	v_fmac_f32_e32 v56, 0xbf167918, v54
	v_sub_f32_e32 v54, v1, v5
	v_sub_f32_e32 v9, v9, v25
	s_delay_alu instid0(VALU_DEP_4)
	v_dual_sub_f32 v1, v5, v1 :: v_dual_fmac_f32 v60, 0x3e9e377a, v16
	global_wb scope:SCOPE_SE
	s_wait_dscnt 0x0
	s_barrier_signal -1
	s_barrier_wait -1
	v_add_f32_e32 v1, v9, v1
	v_fmamk_f32 v61, v0, 0xbf737871, v55
	v_dual_fmac_f32 v55, 0x3f737871, v0 :: v_dual_add_f32 v8, v8, v54
	v_add_f32_e32 v5, v28, v20
	v_fmamk_f32 v64, v4, 0x3f737871, v62
	v_fmac_f32_e32 v62, 0xbf737871, v4
	v_fmac_f32_e32 v61, 0xbf167918, v4
	v_dual_fmac_f32 v56, 0x3e9e377a, v16 :: v_dual_sub_f32 v9, v37, v13
	v_dual_fmac_f32 v55, 0x3f167918, v4 :: v_dual_sub_f32 v16, v29, v21
	v_fma_f32 v5, -0.5, v5, v32
	v_add_f32_e32 v4, v32, v36
	v_fmac_f32_e32 v64, 0xbf167918, v0
	v_fmac_f32_e32 v61, 0x3e9e377a, v8
	;; [unrolled: 1-line block ×4, first 2 shown]
	v_add_f32_e32 v0, v4, v28
	v_dual_fmamk_f32 v4, v9, 0x3f737871, v5 :: v_dual_sub_f32 v25, v12, v20
	v_add_f32_e32 v8, v36, v12
	v_dual_sub_f32 v24, v36, v28 :: v_dual_fmac_f32 v5, 0xbf737871, v9
	v_fmac_f32_e32 v64, 0x3e9e377a, v1
	v_fmac_f32_e32 v62, 0x3e9e377a, v1
	s_delay_alu instid0(VALU_DEP_4) | instskip(NEXT) | instid1(VALU_DEP_4)
	v_fma_f32 v1, -0.5, v8, v32
	v_dual_add_f32 v8, v24, v25 :: v_dual_fmac_f32 v5, 0xbf167918, v16
	v_sub_f32_e32 v32, v20, v12
	global_inv scope:SCOPE_SE
	v_fmamk_f32 v25, v16, 0xbf737871, v1
	v_fmac_f32_e32 v1, 0x3f737871, v16
	v_fmac_f32_e32 v5, 0x3e9e377a, v8
	s_delay_alu instid0(VALU_DEP_3) | instskip(NEXT) | instid1(VALU_DEP_3)
	v_dual_sub_f32 v24, v28, v36 :: v_dual_fmac_f32 v25, 0x3f167918, v9
	v_fmac_f32_e32 v1, 0xbf167918, v9
	s_delay_alu instid0(VALU_DEP_2) | instskip(SKIP_2) | instid1(VALU_DEP_3)
	v_dual_add_f32 v9, v37, v13 :: v_dual_add_f32 v24, v24, v32
	v_add_f32_e32 v0, v0, v20
	v_sub_f32_e32 v20, v28, v20
	v_fma_f32 v9, -0.5, v9, v33
	s_delay_alu instid0(VALU_DEP_4) | instskip(SKIP_3) | instid1(VALU_DEP_2)
	v_fmac_f32_e32 v25, 0x3e9e377a, v24
	v_dual_fmac_f32 v1, 0x3e9e377a, v24 :: v_dual_sub_f32 v24, v37, v29
	v_fmac_f32_e32 v4, 0x3f167918, v16
	v_add_f32_e32 v16, v29, v21
	v_fmac_f32_e32 v4, 0x3e9e377a, v8
	v_add_f32_e32 v8, v33, v37
	s_delay_alu instid0(VALU_DEP_3) | instskip(SKIP_1) | instid1(VALU_DEP_3)
	v_fma_f32 v16, -0.5, v16, v33
	v_fmamk_f32 v33, v20, 0x3f737871, v9
	v_dual_fmac_f32 v9, 0xbf737871, v20 :: v_dual_add_f32 v8, v8, v29
	v_add_f32_e32 v0, v0, v12
	v_sub_f32_e32 v12, v36, v12
	v_sub_f32_e32 v28, v29, v37
	v_sub_f32_e32 v29, v21, v13
	v_add_f32_e32 v8, v8, v21
	v_sub_f32_e32 v21, v13, v21
	v_fmac_f32_e32 v33, 0xbf167918, v12
	v_fmamk_f32 v32, v12, 0xbf737871, v16
	v_dual_add_f32 v28, v28, v29 :: v_dual_fmac_f32 v9, 0x3f167918, v12
	v_add_f32_e32 v8, v8, v13
	v_mul_f32_e32 v37, 0xbf737871, v25
	s_delay_alu instid0(VALU_DEP_4) | instskip(NEXT) | instid1(VALU_DEP_4)
	v_fmac_f32_e32 v32, 0xbf167918, v20
	v_fmac_f32_e32 v33, 0x3e9e377a, v28
	v_dual_add_f32 v21, v24, v21 :: v_dual_fmac_f32 v16, 0x3f737871, v12
	v_sub_f32_e32 v69, v17, v8
	v_fmac_f32_e32 v9, 0x3e9e377a, v28
	s_delay_alu instid0(VALU_DEP_4) | instskip(SKIP_3) | instid1(VALU_DEP_4)
	v_mul_f32_e32 v13, 0x3f737871, v33
	v_fmac_f32_e32 v37, 0x3e9e377a, v33
	v_fmac_f32_e32 v16, 0x3f167918, v20
	v_dual_mul_f32 v20, 0x3e9e377a, v1 :: v_dual_sub_f32 v33, v27, v11
	v_fmac_f32_e32 v13, 0x3e9e377a, v25
	s_delay_alu instid0(VALU_DEP_4) | instskip(SKIP_1) | instid1(VALU_DEP_3)
	v_dual_add_f32 v25, v17, v8 :: v_dual_add_f32 v54, v64, v37
	v_dual_sub_f32 v17, v11, v7 :: v_dual_fmac_f32 v32, 0x3e9e377a, v21
	v_dual_add_f32 v53, v60, v13 :: v_dual_mul_f32 v36, 0xbf167918, v4
	v_sub_f32_e32 v73, v64, v37
	v_dual_sub_f32 v37, v10, v6 :: v_dual_mul_f32 v12, 0x3f4f1bbd, v4
	v_fma_f32 v20, 0x3f737871, v9, -v20
	s_delay_alu instid0(VALU_DEP_4)
	v_fmac_f32_e32 v36, 0x3f4f1bbd, v32
	v_fmac_f32_e32 v16, 0x3e9e377a, v21
	v_mul_f32_e32 v21, 0x3f4f1bbd, v5
	v_mul_f32_e32 v4, 0x3e9e377a, v9
	v_add_f32_e32 v58, v56, v20
	v_add_f32_e32 v29, v61, v36
	v_mul_f32_e32 v9, 0x3f4f1bbd, v16
	v_fma_f32 v21, 0x3f167918, v16, -v21
	v_sub_f32_e32 v71, v61, v36
	v_fma_f32 v1, 0xbf737871, v1, -v4
	v_sub_f32_e32 v36, v3, v7
	v_fma_f32 v9, 0xbf167918, v5, -v9
	v_dual_add_f32 v66, v63, v21 :: v_dual_add_f32 v5, v26, v2
	s_delay_alu instid0(VALU_DEP_4) | instskip(NEXT) | instid1(VALU_DEP_3)
	v_dual_sub_f32 v75, v62, v1 :: v_dual_fmac_f32 v12, 0x3f167918, v32
	v_sub_f32_e32 v77, v55, v9
	v_add_f32_e32 v67, v55, v9
	s_delay_alu instid0(VALU_DEP_4) | instskip(SKIP_3) | instid1(VALU_DEP_4)
	v_fma_f32 v5, -0.5, v5, v18
	v_sub_f32_e32 v9, v10, v26
	v_sub_f32_e32 v32, v6, v2
	v_dual_add_f32 v24, v52, v0 :: v_dual_add_f32 v59, v62, v1
	v_dual_fmamk_f32 v1, v17, 0xbf737871, v5 :: v_dual_sub_f32 v16, v27, v3
	s_delay_alu instid0(VALU_DEP_3) | instskip(SKIP_1) | instid1(VALU_DEP_3)
	v_dual_add_f32 v55, v9, v32 :: v_dual_add_f32 v32, v30, v22
	v_add_f32_e32 v28, v57, v12
	v_dual_add_f32 v4, v10, v6 :: v_dual_fmac_f32 v1, 0x3f167918, v16
	v_sub_f32_e32 v70, v57, v12
	v_dual_sub_f32 v72, v60, v13 :: v_dual_add_f32 v57, v33, v36
	v_dual_sub_f32 v74, v56, v20 :: v_dual_sub_f32 v33, v39, v15
	v_sub_f32_e32 v12, v2, v6
	v_fma_f32 v36, -0.5, v32, v34
	v_dual_sub_f32 v76, v63, v21 :: v_dual_sub_f32 v21, v26, v2
	v_sub_f32_e32 v8, v26, v10
	v_fma_f32 v4, -0.5, v4, v18
	v_sub_f32_e32 v62, v30, v22
	v_sub_f32_e32 v60, v38, v30
	s_delay_alu instid0(VALU_DEP_4) | instskip(SKIP_2) | instid1(VALU_DEP_3)
	v_dual_sub_f32 v61, v14, v22 :: v_dual_add_f32 v20, v8, v12
	v_add_f32_e32 v12, v27, v3
	v_dual_add_f32 v8, v11, v7 :: v_dual_fmamk_f32 v79, v33, 0x3f737871, v36
	v_add_f32_e32 v63, v60, v61
	v_sub_f32_e32 v61, v38, v14
	s_delay_alu instid0(VALU_DEP_4)
	v_fma_f32 v12, -0.5, v12, v19
	v_sub_f32_e32 v68, v52, v0
	v_fmamk_f32 v0, v16, 0x3f737871, v4
	v_mad_u32_u24 v52, 0x48, v42, v48
	v_fma_f32 v13, -0.5, v8, v19
	v_dual_fmamk_f32 v9, v37, 0x3f737871, v12 :: v_dual_add_f32 v32, v38, v14
	v_fmac_f32_e32 v1, 0x3e9e377a, v55
	ds_store_2addr_b64 v52, v[24:25], v[28:29] offset1:1
	ds_store_2addr_b64 v52, v[53:54], v[58:59] offset0:2 offset1:3
	v_dual_add_f32 v25, v31, v23 :: v_dual_fmamk_f32 v8, v21, 0xbf737871, v13
	v_sub_f32_e32 v53, v31, v39
	v_dual_fmac_f32 v9, 0xbf167918, v21 :: v_dual_sub_f32 v56, v31, v23
	v_fmac_f32_e32 v0, 0x3f167918, v17
	v_add_f32_e32 v28, v39, v15
	v_fma_f32 v65, -0.5, v25, v35
	v_sub_f32_e32 v25, v30, v38
	v_fmac_f32_e32 v79, 0x3f167918, v56
	v_fmac_f32_e32 v0, 0x3e9e377a, v20
	v_fma_f32 v60, -0.5, v28, v35
	v_dual_sub_f32 v28, v22, v14 :: v_dual_fmamk_f32 v29, v61, 0xbf737871, v65
	v_sub_f32_e32 v58, v39, v31
	v_dual_sub_f32 v59, v15, v23 :: v_dual_fmac_f32 v8, 0xbf167918, v37
	ds_store_2addr_b64 v52, v[66:67], v[68:69] offset0:4 offset1:5
	ds_store_2addr_b64 v52, v[70:71], v[72:73] offset0:6 offset1:7
	v_dual_add_f32 v66, v25, v28 :: v_dual_fmac_f32 v29, 0xbf167918, v62
	v_dual_add_f32 v67, v58, v59 :: v_dual_fmac_f32 v8, 0x3e9e377a, v57
	v_fmac_f32_e32 v79, 0x3e9e377a, v63
	v_sub_f32_e32 v25, v7, v3
	v_fma_f32 v32, -0.5, v32, v34
	v_fmamk_f32 v80, v62, 0x3f737871, v60
	v_sub_f32_e32 v54, v23, v15
	v_fmac_f32_e32 v29, 0x3e9e377a, v67
	v_mul_f32_e32 v58, 0xbf167918, v79
	v_fmamk_f32 v24, v56, 0xbf737871, v32
	v_fmac_f32_e32 v80, 0xbf167918, v61
	v_add_f32_e32 v64, v53, v54
	v_mul_f32_e32 v54, 0x3f4f1bbd, v79
	v_fmac_f32_e32 v58, 0x3f4f1bbd, v29
	v_fmac_f32_e32 v24, 0x3f167918, v33
	ds_store_2addr_b64 v52, v[74:75], v[76:77] offset0:8 offset1:9
	v_fmac_f32_e32 v80, 0x3e9e377a, v64
	v_fmac_f32_e32 v54, 0x3f167918, v29
	v_fmac_f32_e32 v24, 0x3e9e377a, v66
	s_delay_alu instid0(VALU_DEP_3) | instskip(NEXT) | instid1(VALU_DEP_1)
	v_dual_sub_f32 v78, v11, v27 :: v_dual_mul_f32 v53, 0x3f737871, v80
	v_dual_mul_f32 v59, 0xbf737871, v24 :: v_dual_add_f32 v68, v78, v25
	s_delay_alu instid0(VALU_DEP_2) | instskip(SKIP_1) | instid1(VALU_DEP_3)
	v_dual_fmac_f32 v53, 0x3e9e377a, v24 :: v_dual_sub_f32 v24, v0, v54
	v_sub_f32_e32 v25, v8, v58
	v_fmac_f32_e32 v59, 0x3e9e377a, v80
	s_delay_alu instid0(VALU_DEP_3) | instskip(NEXT) | instid1(VALU_DEP_1)
	v_dual_fmac_f32 v9, 0x3e9e377a, v68 :: v_dual_sub_f32 v28, v1, v53
	v_sub_f32_e32 v29, v9, v59
	v_cmpx_gt_u32_e32 54, v42
	s_cbranch_execz .LBB0_15
; %bb.14:
	v_dual_mul_f32 v69, 0x3f737871, v16 :: v_dual_mul_f32 v74, 0x3f737871, v33
	v_mul_f32_e32 v73, 0x3f737871, v61
	v_dual_mul_f32 v70, 0x3f167918, v17 :: v_dual_mul_f32 v75, 0x3f167918, v56
	s_delay_alu instid0(VALU_DEP_3) | instskip(SKIP_1) | instid1(VALU_DEP_4)
	v_dual_mul_f32 v71, 0x3f737871, v21 :: v_dual_sub_f32 v36, v36, v74
	v_mul_f32_e32 v76, 0x3f167918, v62
	v_dual_mul_f32 v62, 0x3f737871, v62 :: v_dual_add_f32 v65, v65, v73
	v_dual_mul_f32 v17, 0x3f737871, v17 :: v_dual_mul_f32 v56, 0x3f737871, v56
	s_delay_alu instid0(VALU_DEP_4)
	v_dual_mul_f32 v72, 0x3f167918, v37 :: v_dual_add_f32 v13, v13, v71
	v_dual_mul_f32 v37, 0x3f737871, v37 :: v_dual_sub_f32 v36, v36, v75
	v_dual_mul_f32 v63, 0x3e9e377a, v63 :: v_dual_mul_f32 v66, 0x3e9e377a, v66
	v_mul_f32_e32 v67, 0x3e9e377a, v67
	v_dual_add_f32 v65, v76, v65 :: v_dual_mul_f32 v16, 0x3f167918, v16
	v_mul_f32_e32 v21, 0x3f167918, v21
	v_dual_mul_f32 v57, 0x3e9e377a, v57 :: v_dual_mul_f32 v68, 0x3e9e377a, v68
	v_dual_mul_f32 v33, 0x3f167918, v33 :: v_dual_sub_f32 v60, v60, v62
	v_dual_mul_f32 v61, 0x3f167918, v61 :: v_dual_add_f32 v36, v63, v36
	v_dual_mul_f32 v62, 0x3e9e377a, v64 :: v_dual_add_f32 v65, v67, v65
	v_dual_add_f32 v32, v56, v32 :: v_dual_add_f32 v19, v19, v27
	v_sub_f32_e32 v12, v12, v37
	v_add_f32_e32 v13, v72, v13
	v_sub_f32_e32 v4, v4, v69
	s_delay_alu instid0(VALU_DEP_4) | instskip(NEXT) | instid1(VALU_DEP_4)
	v_dual_sub_f32 v27, v32, v33 :: v_dual_add_f32 v32, v35, v39
	v_add_f32_e32 v12, v21, v12
	s_delay_alu instid0(VALU_DEP_4) | instskip(SKIP_4) | instid1(VALU_DEP_4)
	v_add_f32_e32 v13, v57, v13
	v_add_f32_e32 v57, v61, v60
	;; [unrolled: 1-line block ×5, first 2 shown]
	v_dual_sub_f32 v4, v4, v70 :: v_dual_add_f32 v33, v62, v57
	s_delay_alu instid0(VALU_DEP_4) | instskip(SKIP_1) | instid1(VALU_DEP_4)
	v_dual_add_f32 v11, v11, v7 :: v_dual_mul_f32 v20, 0x3e9e377a, v20
	v_mul_f32_e32 v55, 0x3e9e377a, v55
	v_add_f32_e32 v21, v21, v23
	s_delay_alu instid0(VALU_DEP_4) | instskip(SKIP_2) | instid1(VALU_DEP_4)
	v_mul_f32_e32 v27, 0x3e9e377a, v33
	v_dual_mul_f32 v63, 0x3f4f1bbd, v65 :: v_dual_add_f32 v12, v68, v12
	v_add_f32_e32 v9, v9, v59
	v_add_f32_e32 v21, v21, v15
	s_delay_alu instid0(VALU_DEP_4) | instskip(SKIP_4) | instid1(VALU_DEP_3)
	v_fma_f32 v23, 0xbf737871, v19, -v27
	v_add_f32_e32 v27, v11, v3
	v_add_f32_e32 v11, v18, v26
	;; [unrolled: 1-line block ×3, first 2 shown]
	v_fma_f32 v56, 0xbf167918, v36, -v63
	v_add_f32_e32 v10, v11, v10
	s_delay_alu instid0(VALU_DEP_3) | instskip(SKIP_2) | instid1(VALU_DEP_4)
	v_dual_add_f32 v15, v18, v30 :: v_dual_add_f32 v18, v20, v4
	v_add_f32_e32 v5, v17, v5
	v_mul_i32_i24_e32 v4, 10, v44
	v_add_f32_e32 v6, v10, v6
	s_delay_alu instid0(VALU_DEP_4) | instskip(NEXT) | instid1(VALU_DEP_4)
	v_dual_add_f32 v10, v15, v22 :: v_dual_mul_f32 v15, 0x3f4f1bbd, v36
	v_dual_sub_f32 v5, v5, v16 :: v_dual_mul_f32 v16, 0x3e9e377a, v19
	s_delay_alu instid0(VALU_DEP_3) | instskip(NEXT) | instid1(VALU_DEP_3)
	v_dual_sub_f32 v7, v13, v56 :: v_dual_add_f32 v2, v6, v2
	v_add_f32_e32 v6, v10, v14
	s_delay_alu instid0(VALU_DEP_3) | instskip(NEXT) | instid1(VALU_DEP_4)
	v_add_f32_e32 v20, v55, v5
	v_fma_f32 v22, 0x3f737871, v33, -v16
	v_fma_f32 v19, 0x3f167918, v65, -v15
	s_delay_alu instid0(VALU_DEP_4)
	v_dual_sub_f32 v3, v12, v23 :: v_dual_add_f32 v16, v2, v6
	v_dual_sub_f32 v10, v2, v6 :: v_dual_add_f32 v5, v13, v56
	v_add_f32_e32 v13, v12, v23
	v_add_f32_e32 v15, v8, v58
	v_dual_add_f32 v12, v20, v22 :: v_dual_sub_f32 v11, v27, v21
	v_dual_add_f32 v14, v0, v54 :: v_dual_add_f32 v17, v27, v21
	v_lshl_add_u32 v0, v4, 3, 0
	v_add_f32_e32 v8, v1, v53
	v_add_f32_e32 v4, v18, v19
	v_sub_f32_e32 v6, v18, v19
	v_sub_f32_e32 v2, v20, v22
	ds_store_2addr_b64 v0, v[16:17], v[14:15] offset1:1
	ds_store_2addr_b64 v0, v[8:9], v[12:13] offset0:2 offset1:3
	ds_store_2addr_b64 v0, v[4:5], v[10:11] offset0:4 offset1:5
	;; [unrolled: 1-line block ×4, first 2 shown]
.LBB0_15:
	s_wait_alu 0xfffe
	s_or_b32 exec_lo, exec_lo, s1
	v_and_b32_e32 v0, 0xff, v42
	global_wb scope:SCOPE_SE
	s_wait_dscnt 0x0
	s_barrier_signal -1
	s_barrier_wait -1
	global_inv scope:SCOPE_SE
	v_mul_lo_u16 v0, 0xcd, v0
	v_mad_i32_i24 v81, 0xffffffb8, v42, v52
	v_lshl_add_u32 v38, v44, 3, 0
	v_cmp_gt_u32_e64 s0, 30, v42
	s_delay_alu instid0(VALU_DEP_4) | instskip(NEXT) | instid1(VALU_DEP_1)
	v_lshrrev_b16 v34, 11, v0
	v_mul_lo_u16 v0, v34, 10
	s_delay_alu instid0(VALU_DEP_1) | instskip(NEXT) | instid1(VALU_DEP_1)
	v_sub_nc_u16 v0, v42, v0
	v_and_b32_e32 v39, 0xff, v0
	s_delay_alu instid0(VALU_DEP_1) | instskip(NEXT) | instid1(VALU_DEP_1)
	v_mul_u32_u24_e32 v0, 15, v39
	v_lshlrev_b32_e32 v26, 3, v0
	s_clause 0x7
	global_load_b128 v[0:3], v26, s[8:9]
	global_load_b128 v[4:7], v26, s[8:9] offset:16
	global_load_b128 v[8:11], v26, s[8:9] offset:32
	;; [unrolled: 1-line block ×6, first 2 shown]
	global_load_b64 v[26:27], v26, s[8:9] offset:112
	v_add_nc_u32_e32 v82, 0x400, v81
	v_and_b32_e32 v53, 0xffff, v34
	ds_load_b64 v[77:78], v38
	ds_load_2addr_b64 v[34:37], v82 offset0:52 offset1:142
	v_add_nc_u32_e32 v54, 0x800, v81
	v_mul_u32_u24_e32 v61, 0xa0, v53
	s_wait_loadcnt_dscnt 0x600
	v_dual_mul_f32 v84, v3, v35 :: v_dual_mul_f32 v85, v5, v37
	v_mul_f32_e32 v5, v5, v36
	ds_load_2addr_b64 v[53:56], v54 offset0:104 offset1:194
	ds_load_b64 v[79:80], v48
	ds_load_2addr_b64 v[57:60], v43 offset0:28 offset1:118
	v_add_nc_u32_e32 v83, 0x2400, v48
	v_or_b32_e32 v39, v61, v39
	v_mul_f32_e32 v3, v3, v34
	v_fma_f32 v34, v2, v34, -v84
	s_delay_alu instid0(VALU_DEP_3)
	v_lshl_add_u32 v39, v39, 3, 0
	s_wait_dscnt 0x2
	v_mul_f32_e32 v86, v7, v54
	ds_load_2addr_b64 v[61:64], v51 offset0:80 offset1:170
	ds_load_2addr_b64 v[65:68], v45 offset0:132 offset1:222
	;; [unrolled: 1-line block ×4, first 2 shown]
	v_mul_f32_e32 v51, v1, v78
	v_mul_f32_e32 v1, v1, v77
	;; [unrolled: 1-line block ×3, first 2 shown]
	s_wait_loadcnt 0x5
	v_mul_f32_e32 v87, v56, v9
	s_wait_dscnt 0x4
	v_dual_mul_f32 v9, v55, v9 :: v_dual_mul_f32 v88, v58, v11
	v_mul_f32_e32 v11, v57, v11
	s_wait_loadcnt 0x4
	v_mul_f32_e32 v89, v60, v13
	v_fma_f32 v51, v0, v77, -v51
	v_fmac_f32_e32 v1, v0, v78
	v_fma_f32 v53, v6, v53, -v86
	v_fmac_f32_e32 v3, v2, v35
	global_wb scope:SCOPE_SE
	s_wait_loadcnt_dscnt 0x0
	s_barrier_signal -1
	s_barrier_wait -1
	global_inv scope:SCOPE_SE
	v_mul_f32_e32 v90, v62, v15
	v_dual_mul_f32 v0, v61, v15 :: v_dual_mul_f32 v13, v59, v13
	v_fma_f32 v36, v4, v36, -v85
	v_dual_fmac_f32 v7, v6, v54 :: v_dual_mul_f32 v6, v71, v31
	v_mul_f32_e32 v2, v63, v17
	v_mul_f32_e32 v54, v76, v27
	v_fma_f32 v55, v55, v8, -v87
	v_dual_fmac_f32 v9, v56, v8 :: v_dual_mul_f32 v8, v75, v27
	v_fma_f32 v27, v57, v10, -v88
	v_fmac_f32_e32 v5, v4, v37
	v_dual_mul_f32 v4, v67, v21 :: v_dual_fmac_f32 v11, v58, v10
	v_fma_f32 v10, v59, v12, -v89
	v_dual_fmac_f32 v0, v62, v14 :: v_dual_fmac_f32 v13, v60, v12
	v_fma_f32 v12, v61, v14, -v90
	v_mul_f32_e32 v15, v64, v17
	v_dual_mul_f32 v17, v66, v19 :: v_dual_fmac_f32 v4, v68, v20
	v_dual_mul_f32 v19, v65, v19 :: v_dual_fmac_f32 v6, v72, v30
	v_mul_f32_e32 v35, v68, v21
	v_dual_mul_f32 v21, v70, v23 :: v_dual_fmac_f32 v8, v76, v26
	v_dual_mul_f32 v23, v69, v23 :: v_dual_sub_f32 v0, v80, v0
	s_delay_alu instid0(VALU_DEP_4) | instskip(NEXT) | instid1(VALU_DEP_3)
	v_sub_f32_e32 v6, v9, v6
	v_dual_fmac_f32 v19, v66, v18 :: v_dual_sub_f32 v8, v13, v8
	v_fmac_f32_e32 v2, v64, v16
	v_sub_f32_e32 v12, v79, v12
	v_fma_f32 v14, v63, v16, -v15
	v_mul_f32_e32 v37, v72, v31
	s_delay_alu instid0(VALU_DEP_4)
	v_dual_mul_f32 v31, v74, v33 :: v_dual_sub_f32 v2, v1, v2
	v_sub_f32_e32 v19, v3, v19
	v_fmac_f32_e32 v23, v70, v22
	v_fma_f32 v15, v65, v18, -v17
	v_fma_f32 v17, v69, v22, -v21
	v_sub_f32_e32 v14, v51, v14
	v_fma_f32 v18, v71, v30, -v37
	v_dual_mul_f32 v33, v73, v33 :: v_dual_sub_f32 v22, v7, v23
	v_fma_f32 v16, v67, v20, -v35
	v_fma_f32 v20, v73, v32, -v31
	s_delay_alu instid0(VALU_DEP_3) | instskip(NEXT) | instid1(VALU_DEP_3)
	v_dual_sub_f32 v18, v55, v18 :: v_dual_fmac_f32 v33, v74, v32
	v_dual_sub_f32 v17, v53, v17 :: v_dual_sub_f32 v16, v36, v16
	s_delay_alu instid0(VALU_DEP_3)
	v_dual_sub_f32 v15, v34, v15 :: v_dual_sub_f32 v20, v27, v20
	v_fma_f32 v21, v75, v26, -v54
	v_sub_f32_e32 v4, v5, v4
	v_fma_f32 v7, v7, 2.0, -v22
	v_fma_f32 v9, v9, 2.0, -v6
	;; [unrolled: 1-line block ×4, first 2 shown]
	v_sub_f32_e32 v8, v16, v8
	v_fma_f32 v32, v34, 2.0, -v15
	v_fma_f32 v34, v55, 2.0, -v18
	v_dual_sub_f32 v22, v12, v22 :: v_dual_sub_f32 v23, v11, v33
	v_sub_f32_e32 v6, v14, v6
	v_add_f32_e32 v18, v2, v18
	v_fma_f32 v31, v53, 2.0, -v17
	v_add_f32_e32 v17, v0, v17
	v_fma_f32 v30, v80, 2.0, -v0
	v_fma_f32 v33, v51, 2.0, -v14
	;; [unrolled: 1-line block ×3, first 2 shown]
	v_sub_f32_e32 v21, v10, v21
	v_fma_f32 v36, v0, 2.0, -v17
	v_sub_f32_e32 v0, v32, v27
	v_fma_f32 v11, v11, 2.0, -v23
	v_fma_f32 v14, v14, 2.0, -v6
	;; [unrolled: 1-line block ×3, first 2 shown]
	v_sub_f32_e32 v23, v15, v23
	v_fma_f32 v26, v79, 2.0, -v12
	v_fma_f32 v1, v1, 2.0, -v2
	;; [unrolled: 1-line block ×3, first 2 shown]
	v_dual_add_f32 v20, v19, v20 :: v_dual_sub_f32 v27, v33, v34
	s_delay_alu instid0(VALU_DEP_3) | instskip(NEXT) | instid1(VALU_DEP_3)
	v_dual_fmamk_f32 v34, v23, 0x3f3504f3, v22 :: v_dual_sub_f32 v9, v1, v9
	v_dual_sub_f32 v10, v35, v10 :: v_dual_sub_f32 v31, v26, v31
	v_fma_f32 v5, v5, 2.0, -v4
	s_delay_alu instid0(VALU_DEP_3)
	v_fmac_f32_e32 v34, 0xbf3504f3, v20
	v_fma_f32 v3, v3, 2.0, -v19
	v_fma_f32 v19, v19, 2.0, -v20
	v_fmamk_f32 v37, v20, 0x3f3504f3, v17
	v_fmamk_f32 v51, v8, 0x3f3504f3, v6
	v_fma_f32 v54, v26, 2.0, -v31
	v_fma_f32 v26, v32, 2.0, -v0
	;; [unrolled: 1-line block ×5, first 2 shown]
	v_dual_fmamk_f32 v20, v16, 0xbf3504f3, v14 :: v_dual_sub_f32 v11, v3, v11
	v_dual_add_f32 v10, v9, v10 :: v_dual_add_f32 v21, v4, v21
	v_fma_f32 v12, v12, 2.0, -v22
	v_fma_f32 v15, v15, 2.0, -v23
	s_delay_alu instid0(VALU_DEP_4)
	v_sub_f32_e32 v56, v31, v11
	v_fma_f32 v2, v2, 2.0, -v18
	v_fmamk_f32 v53, v21, 0x3f3504f3, v18
	v_fmac_f32_e32 v51, 0xbf3504f3, v21
	v_sub_f32_e32 v13, v5, v13
	v_fma_f32 v4, v4, 2.0, -v21
	v_fmamk_f32 v35, v15, 0xbf3504f3, v12
	v_fmac_f32_e32 v53, 0x3f3504f3, v8
	v_dual_sub_f32 v21, v54, v26 :: v_dual_fmamk_f32 v26, v51, 0x3f6c835e, v34
	v_fma_f32 v5, v5, 2.0, -v13
	v_dual_sub_f32 v7, v30, v7 :: v_dual_fmac_f32 v20, 0xbf3504f3, v4
	v_fma_f32 v3, v3, 2.0, -v11
	s_delay_alu instid0(VALU_DEP_3) | instskip(NEXT) | instid1(VALU_DEP_3)
	v_dual_fmamk_f32 v55, v19, 0xbf3504f3, v36 :: v_dual_sub_f32 v8, v33, v5
	v_fma_f32 v30, v30, 2.0, -v7
	v_fmac_f32_e32 v37, 0x3f3504f3, v23
	v_fmac_f32_e32 v35, 0xbf3504f3, v19
	s_delay_alu instid0(VALU_DEP_4)
	v_fmac_f32_e32 v55, 0x3f3504f3, v15
	v_fma_f32 v31, v31, 2.0, -v56
	v_dual_sub_f32 v58, v30, v3 :: v_dual_sub_f32 v11, v27, v13
	v_fma_f32 v60, v17, 2.0, -v37
	v_fma_f32 v17, v6, 2.0, -v51
	;; [unrolled: 1-line block ×3, first 2 shown]
	v_fmac_f32_e32 v26, 0xbec3ef15, v53
	v_sub_f32_e32 v6, v21, v8
	v_fmamk_f32 v8, v20, 0x3ec3ef15, v35
	v_fma_f32 v15, v27, 2.0, -v11
	v_fmamk_f32 v23, v4, 0xbf3504f3, v2
	v_fma_f32 v22, v22, 2.0, -v34
	v_add_f32_e32 v57, v7, v0
	v_fma_f32 v18, v18, 2.0, -v53
	s_delay_alu instid0(VALU_DEP_4) | instskip(NEXT) | instid1(VALU_DEP_4)
	v_dual_fmamk_f32 v0, v11, 0x3f3504f3, v56 :: v_dual_fmac_f32 v23, 0x3f3504f3, v16
	v_fmamk_f32 v4, v17, 0xbec3ef15, v22
	s_delay_alu instid0(VALU_DEP_4)
	v_fma_f32 v59, v7, 2.0, -v57
	v_sub_f32_e32 v7, v32, v1
	v_fma_f32 v16, v9, 2.0, -v10
	v_fma_f32 v33, v2, 2.0, -v23
	v_fmac_f32_e32 v4, 0xbf6c835e, v18
	v_fmamk_f32 v2, v15, 0xbf3504f3, v31
	v_fmamk_f32 v1, v10, 0x3f3504f3, v57
	v_fmamk_f32 v27, v53, 0x3f6c835e, v37
	v_fma_f32 v54, v54, 2.0, -v21
	v_fma_f32 v30, v30, 2.0, -v58
	;; [unrolled: 1-line block ×3, first 2 shown]
	v_fmac_f32_e32 v2, 0xbf3504f3, v16
	v_fma_f32 v61, v12, 2.0, -v35
	v_fma_f32 v12, v32, 2.0, -v7
	;; [unrolled: 1-line block ×3, first 2 shown]
	v_fmamk_f32 v3, v16, 0xbf3504f3, v59
	v_fmamk_f32 v5, v18, 0xbec3ef15, v60
	;; [unrolled: 1-line block ×3, first 2 shown]
	v_dual_add_f32 v7, v58, v7 :: v_dual_fmac_f32 v0, 0xbf3504f3, v10
	v_fmac_f32_e32 v1, 0x3f3504f3, v11
	v_dual_fmac_f32 v27, 0x3ec3ef15, v51 :: v_dual_sub_f32 v10, v54, v12
	v_dual_fmamk_f32 v12, v32, 0xbf6c835e, v61 :: v_dual_sub_f32 v11, v30, v13
	v_fmac_f32_e32 v8, 0xbf6c835e, v23
	v_fmamk_f32 v13, v33, 0xbf6c835e, v36
	v_fmac_f32_e32 v3, 0x3f3504f3, v15
	v_fmac_f32_e32 v5, 0x3f6c835e, v17
	;; [unrolled: 1-line block ×3, first 2 shown]
	v_fma_f32 v16, v56, 2.0, -v0
	v_fma_f32 v17, v57, 2.0, -v1
	;; [unrolled: 1-line block ×4, first 2 shown]
	v_fmac_f32_e32 v12, 0xbec3ef15, v33
	v_fmac_f32_e32 v13, 0x3ec3ef15, v32
	v_fma_f32 v14, v21, 2.0, -v6
	v_fma_f32 v20, v31, 2.0, -v2
	;; [unrolled: 1-line block ×6, first 2 shown]
	ds_store_2addr_b64 v39, v[0:1], v[26:27] offset0:140 offset1:150
	v_fma_f32 v1, v30, 2.0, -v11
	v_fma_f32 v30, v35, 2.0, -v8
	;; [unrolled: 1-line block ×4, first 2 shown]
	ds_store_2addr_b64 v39, v[16:17], v[18:19] offset0:60 offset1:70
	ds_store_2addr_b64 v39, v[2:3], v[4:5] offset0:100 offset1:110
	v_fma_f32 v2, v61, 2.0, -v12
	v_fma_f32 v3, v36, 2.0, -v13
	ds_store_2addr_b64 v39, v[6:7], v[8:9] offset0:120 offset1:130
	ds_store_2addr_b64 v39, v[20:21], v[22:23] offset0:20 offset1:30
	;; [unrolled: 1-line block ×4, first 2 shown]
	ds_store_2addr_b64 v39, v[0:1], v[2:3] offset1:10
	global_wb scope:SCOPE_SE
	s_wait_dscnt 0x0
	s_barrier_signal -1
	s_barrier_wait -1
	global_inv scope:SCOPE_SE
	ds_load_2addr_b64 v[16:19], v50 offset0:96 offset1:186
	ds_load_2addr_b64 v[4:7], v45 offset0:72 offset1:192
	;; [unrolled: 1-line block ×6, first 2 shown]
	ds_load_b64 v[36:37], v48
	ds_load_b64 v[34:35], v38
	ds_load_b64 v[32:33], v81 offset:2880
	v_mul_i32_i24_e32 v30, 0xffffffb8, v42
	s_delay_alu instid0(VALU_DEP_1)
	v_add_nc_u32_e32 v39, v52, v30
	s_and_saveexec_b32 s1, s0
	s_cbranch_execz .LBB0_17
; %bb.16:
	ds_load_b64 v[24:25], v48 offset:7440
	ds_load_b64 v[26:27], v39 offset:3600
	;; [unrolled: 1-line block ×3, first 2 shown]
.LBB0_17:
	s_wait_alu 0xfffe
	s_or_b32 exec_lo, exec_lo, s1
	v_dual_mov_b32 v50, 0 :: v_dual_lshlrev_b32 v49, 1, v42
	v_add_nc_u32_e32 v30, 0xffffffba, v42
	v_cmp_gt_u32_e64 s1, 0x46, v42
	s_delay_alu instid0(VALU_DEP_3) | instskip(SKIP_1) | instid1(VALU_DEP_2)
	v_mov_b32_e32 v52, v50
	s_wait_alu 0xf1ff
	v_cndmask_b32_e64 v75, v30, v44, s1
	v_lshlrev_b64_e32 v[30:31], 3, v[49:50]
	v_add_nc_u32_e32 v49, 40, v49
	s_delay_alu instid0(VALU_DEP_3) | instskip(NEXT) | instid1(VALU_DEP_3)
	v_lshlrev_b32_e32 v51, 1, v75
	v_add_co_u32 v30, s1, s8, v30
	s_wait_alu 0xf1ff
	s_delay_alu instid0(VALU_DEP_4) | instskip(NEXT) | instid1(VALU_DEP_3)
	v_add_co_ci_u32_e64 v31, s1, s9, v31, s1
	v_lshlrev_b64_e32 v[55:56], 3, v[51:52]
	v_lshlrev_b64_e32 v[49:50], 3, v[49:50]
	global_load_b128 v[51:54], v[30:31], off offset:1200
	v_lshlrev_b32_e32 v75, 3, v75
	v_add_co_u32 v49, s1, s8, v49
	s_wait_alu 0xf1ff
	v_add_co_ci_u32_e64 v50, s1, s9, v50, s1
	v_add_co_u32 v59, s1, s8, v55
	s_wait_alu 0xf1ff
	v_add_co_ci_u32_e64 v60, s1, s9, v56, s1
	s_clause 0x1
	global_load_b128 v[55:58], v[49:50], off offset:1200
	global_load_b128 v[59:62], v[59:60], off offset:1200
	v_cmp_lt_u32_e64 s1, 0x45, v42
	v_add_nc_u32_e32 v49, 0x10e, v42
	v_add_nc_u32_e32 v43, 0x1c2, v42
	;; [unrolled: 1-line block ×3, first 2 shown]
	s_wait_alu 0xf1ff
	v_cndmask_b32_e64 v79, 0, 0xf00, s1
	v_and_b32_e32 v50, 0xffff, v49
	v_and_b32_e32 v64, 0xffff, v43
	s_delay_alu instid0(VALU_DEP_3)
	v_add3_u32 v75, 0, v79, v75
	s_wait_loadcnt_dscnt 0x207
	v_mul_f32_e32 v79, v54, v7
	v_mul_f32_e32 v54, v54, v6
	v_add_nc_u32_e32 v45, 0x168, v42
	v_mul_u32_u24_e32 v50, 0xcccd, v50
	s_delay_alu instid0(VALU_DEP_4) | instskip(NEXT) | instid1(VALU_DEP_3)
	v_fma_f32 v6, v53, v6, -v79
	v_dual_fmac_f32 v54, v53, v7 :: v_dual_and_b32 v63, 0xffff, v45
	s_delay_alu instid0(VALU_DEP_3) | instskip(NEXT) | instid1(VALU_DEP_2)
	v_lshrrev_b32_e32 v76, 23, v50
	v_mul_u32_u24_e32 v63, 0xcccd, v63
	s_wait_loadcnt_dscnt 0x104
	v_mul_f32_e32 v7, v56, v13
	v_mul_u32_u24_e32 v50, 0xcccd, v64
	v_mul_lo_u16 v64, 0xa0, v76
	v_mul_u32_u24_e32 v76, 0xf00, v76
	v_lshrrev_b32_e32 v63, 23, v63
	v_mul_f32_e32 v53, v58, v22
	v_lshrrev_b32_e32 v50, 23, v50
	v_sub_nc_u16 v64, v49, v64
	s_delay_alu instid0(VALU_DEP_4) | instskip(NEXT) | instid1(VALU_DEP_3)
	v_mul_lo_u16 v63, 0xa0, v63
	v_mul_lo_u16 v50, 0xa0, v50
	s_delay_alu instid0(VALU_DEP_3) | instskip(NEXT) | instid1(VALU_DEP_3)
	v_and_b32_e32 v77, 0xffff, v64
	v_sub_nc_u16 v63, v45, v63
	s_delay_alu instid0(VALU_DEP_1) | instskip(NEXT) | instid1(VALU_DEP_3)
	v_and_b32_e32 v78, 0xffff, v63
	v_lshlrev_b32_e32 v63, 4, v77
	v_lshlrev_b32_e32 v77, 3, v77
	s_delay_alu instid0(VALU_DEP_1) | instskip(SKIP_2) | instid1(VALU_DEP_2)
	v_add3_u32 v76, 0, v76, v77
	v_mul_f32_e32 v77, v52, v17
	v_mul_f32_e32 v52, v52, v16
	v_fma_f32 v16, v51, v16, -v77
	s_delay_alu instid0(VALU_DEP_2)
	v_dual_fmac_f32 v52, v51, v17 :: v_dual_mul_f32 v17, v56, v12
	s_wait_loadcnt 0x0
	v_mul_f32_e32 v56, v60, v19
	v_sub_nc_u16 v50, v43, v50
	v_dual_mul_f32 v51, v58, v23 :: v_dual_mul_f32 v58, v60, v18
	v_dual_mul_f32 v60, v62, v21 :: v_dual_lshlrev_b32 v67, 4, v78
	s_delay_alu instid0(VALU_DEP_3)
	v_and_b32_e32 v50, 0xffff, v50
	v_mul_f32_e32 v62, v62, v20
	global_load_b128 v[63:66], v63, s[8:9] offset:1200
	v_fmac_f32_e32 v58, v59, v19
	v_fma_f32 v18, v59, v18, -v56
	v_dual_fmac_f32 v62, v61, v21 :: v_dual_lshlrev_b32 v71, 4, v50
	s_clause 0x1
	global_load_b128 v[67:70], v67, s[8:9] offset:1200
	global_load_b128 v[71:74], v71, s[8:9] offset:1200
	v_fma_f32 v19, v61, v20, -v60
	v_lshl_add_u32 v78, v78, 3, 0
	v_fma_f32 v12, v55, v12, -v7
	v_fmac_f32_e32 v17, v55, v13
	v_fma_f32 v22, v57, v22, -v51
	s_wait_dscnt 0x2
	v_add_f32_e32 v7, v36, v16
	v_fmac_f32_e32 v53, v57, v23
	v_add_f32_e32 v13, v16, v6
	v_dual_sub_f32 v23, v52, v54 :: v_dual_add_f32 v56, v18, v19
	v_dual_add_f32 v51, v37, v52 :: v_dual_add_f32 v52, v52, v54
	v_dual_add_f32 v20, v0, v12 :: v_dual_add_nc_u32 v81, 0x1c00, v78
	v_sub_f32_e32 v16, v16, v6
	v_dual_add_f32 v21, v12, v22 :: v_dual_sub_f32 v60, v18, v19
	s_delay_alu instid0(VALU_DEP_4)
	v_dual_fmac_f32 v37, -0.5, v52 :: v_dual_add_f32 v52, v1, v17
	v_add_f32_e32 v6, v7, v6
	v_dual_add_f32 v7, v51, v54 :: v_dual_add_f32 v54, v17, v53
	v_fma_f32 v36, -0.5, v13, v36
	v_sub_f32_e32 v51, v17, v53
	v_sub_f32_e32 v55, v12, v22
	;; [unrolled: 1-line block ×3, first 2 shown]
	v_fma_f32 v0, -0.5, v21, v0
	v_fmamk_f32 v12, v23, 0x3f5db3d7, v36
	s_wait_dscnt 0x1
	v_dual_fmac_f32 v36, 0xbf5db3d7, v23 :: v_dual_add_f32 v23, v34, v18
	v_add_f32_e32 v59, v35, v58
	v_dual_add_f32 v58, v58, v62 :: v_dual_fmamk_f32 v13, v16, 0xbf5db3d7, v37
	v_dual_fmac_f32 v37, 0x3f5db3d7, v16 :: v_dual_add_f32 v16, v20, v22
	v_add_f32_e32 v17, v52, v53
	v_fma_f32 v1, -0.5, v54, v1
	v_fma_f32 v34, -0.5, v56, v34
	global_wb scope:SCOPE_SE
	s_wait_loadcnt_dscnt 0x0
	s_barrier_signal -1
	s_barrier_wait -1
	global_inv scope:SCOPE_SE
	v_fmamk_f32 v20, v51, 0x3f5db3d7, v0
	v_fmac_f32_e32 v0, 0xbf5db3d7, v51
	v_mul_f32_e32 v22, v64, v15
	v_mul_f32_e32 v52, v64, v14
	;; [unrolled: 1-line block ×3, first 2 shown]
	v_dual_mul_f32 v64, v4, v68 :: v_dual_mul_f32 v53, v9, v66
	v_dual_add_f32 v18, v23, v19 :: v_dual_mul_f32 v61, v5, v68
	v_mul_f32_e32 v66, v11, v70
	v_mul_f32_e32 v68, v10, v70
	;; [unrolled: 1-line block ×3, first 2 shown]
	v_dual_mul_f32 v72, v24, v72 :: v_dual_mul_f32 v77, v29, v74
	v_mul_f32_e32 v74, v28, v74
	v_dual_fmac_f32 v35, -0.5, v58 :: v_dual_fmac_f32 v52, v63, v15
	v_dual_fmac_f32 v64, v5, v67 :: v_dual_fmamk_f32 v21, v55, 0xbf5db3d7, v1
	v_dual_add_f32 v19, v59, v62 :: v_dual_fmac_f32 v54, v9, v65
	v_fmac_f32_e32 v1, 0x3f5db3d7, v55
	ds_store_2addr_b64 v48, v[6:7], v[12:13] offset1:160
	ds_store_b64 v48, v[36:37] offset:2560
	v_fma_f32 v6, v63, v14, -v22
	v_fma_f32 v7, v8, v65, -v53
	;; [unrolled: 1-line block ×4, first 2 shown]
	v_fmac_f32_e32 v68, v11, v69
	v_fma_f32 v10, v24, v71, -v70
	v_dual_fmac_f32 v72, v25, v71 :: v_dual_add_f32 v15, v3, v52
	v_fma_f32 v11, v28, v73, -v77
	v_dual_fmac_f32 v74, v29, v73 :: v_dual_add_f32 v13, v6, v7
	v_dual_fmamk_f32 v4, v57, 0x3f5db3d7, v34 :: v_dual_sub_f32 v23, v6, v7
	v_dual_fmamk_f32 v5, v60, 0xbf5db3d7, v35 :: v_dual_fmac_f32 v34, 0xbf5db3d7, v57
	v_add_f32_e32 v25, v33, v64
	v_dual_fmac_f32 v35, 0x3f5db3d7, v60 :: v_dual_sub_f32 v14, v52, v54
	v_dual_add_f32 v37, v10, v11 :: v_dual_add_f32 v22, v52, v54
	v_add_f32_e32 v53, v72, v74
	ds_store_2addr_b64 v75, v[18:19], v[4:5] offset1:160
	ds_store_b64 v75, v[34:35] offset:2560
	ds_store_2addr_b64 v80, v[16:17], v[20:21] offset0:52 offset1:212
	ds_store_b64 v48, v[0:1] offset:6560
	v_dual_add_f32 v5, v25, v68 :: v_dual_add_f32 v24, v8, v9
	v_fmac_f32_e32 v3, -0.5, v22
	v_dual_add_f32 v12, v2, v6 :: v_dual_add_f32 v29, v64, v68
	v_dual_add_f32 v6, v32, v8 :: v_dual_add_f32 v1, v15, v54
	v_sub_f32_e32 v28, v64, v68
	v_sub_f32_e32 v36, v8, v9
	v_add_f32_e32 v8, v26, v10
	v_dual_sub_f32 v51, v72, v74 :: v_dual_add_f32 v52, v27, v72
	v_sub_f32_e32 v10, v10, v11
	v_fma_f32 v2, -0.5, v13, v2
	v_fma_f32 v32, -0.5, v24, v32
	v_fmac_f32_e32 v26, -0.5, v37
	v_fmac_f32_e32 v27, -0.5, v53
	v_dual_fmac_f32 v33, -0.5, v29 :: v_dual_add_f32 v0, v12, v7
	v_dual_add_f32 v4, v6, v9 :: v_dual_add_f32 v25, v52, v74
	s_delay_alu instid0(VALU_DEP_3)
	v_dual_add_f32 v24, v8, v11 :: v_dual_fmamk_f32 v29, v10, 0xbf5db3d7, v27
	v_dual_fmamk_f32 v6, v14, 0x3f5db3d7, v2 :: v_dual_fmac_f32 v27, 0x3f5db3d7, v10
	v_fmamk_f32 v7, v23, 0xbf5db3d7, v3
	v_dual_fmac_f32 v3, 0x3f5db3d7, v23 :: v_dual_fmamk_f32 v8, v28, 0x3f5db3d7, v32
	v_fmac_f32_e32 v32, 0xbf5db3d7, v28
	v_fmamk_f32 v28, v51, 0x3f5db3d7, v26
	v_fmac_f32_e32 v26, 0xbf5db3d7, v51
	v_dual_fmac_f32 v2, 0xbf5db3d7, v14 :: v_dual_fmamk_f32 v9, v36, 0xbf5db3d7, v33
	v_fmac_f32_e32 v33, 0x3f5db3d7, v36
	ds_store_2addr_b64 v76, v[0:1], v[6:7] offset1:160
	ds_store_b64 v76, v[2:3] offset:2560
	ds_store_2addr_b64 v81, v[4:5], v[8:9] offset0:64 offset1:224
	ds_store_b64 v78, v[32:33] offset:10240
	s_and_saveexec_b32 s1, s0
	s_cbranch_execz .LBB0_19
; %bb.18:
	v_lshl_add_u32 v0, v50, 3, 0
	s_delay_alu instid0(VALU_DEP_1)
	v_add_nc_u32_e32 v1, 0x1c00, v0
	ds_store_2addr_b64 v1, v[24:25], v[28:29] offset0:64 offset1:224
	ds_store_b64 v0, v[26:27] offset:10240
.LBB0_19:
	s_wait_alu 0xfffe
	s_or_b32 exec_lo, exec_lo, s1
	v_add_nc_u32_e32 v0, 0xc00, v48
	global_wb scope:SCOPE_SE
	s_wait_dscnt 0x0
	s_barrier_signal -1
	s_barrier_wait -1
	global_inv scope:SCOPE_SE
	ds_load_2addr_b64 v[16:19], v0 offset0:96 offset1:186
	v_add_nc_u32_e32 v0, 0x1800, v48
	v_add_nc_u32_e32 v1, 0x2000, v48
	;; [unrolled: 1-line block ×5, first 2 shown]
	ds_load_2addr_b64 v[4:7], v0 offset0:72 offset1:192
	ds_load_2addr_b64 v[20:23], v1 offset0:26 offset1:116
	ds_load_2addr_b64 v[0:3], v50 offset0:52 offset1:142
	ds_load_2addr_b64 v[12:15], v8 offset0:148 offset1:238
	ds_load_2addr_b64 v[8:11], v9 offset0:78 offset1:168
	ds_load_b64 v[36:37], v48
	ds_load_b64 v[34:35], v38
	ds_load_b64 v[32:33], v39 offset:2880
	s_and_saveexec_b32 s1, s0
	s_cbranch_execz .LBB0_21
; %bb.20:
	ds_load_b64 v[28:29], v48 offset:7440
	ds_load_b64 v[24:25], v39 offset:3600
	;; [unrolled: 1-line block ×3, first 2 shown]
.LBB0_21:
	s_wait_alu 0xfffe
	s_or_b32 exec_lo, exec_lo, s1
	global_load_b128 v[51:54], v[30:31], off offset:3760
	v_dual_mov_b32 v31, 0 :: v_dual_lshlrev_b32 v30, 1, v44
	s_delay_alu instid0(VALU_DEP_1) | instskip(SKIP_1) | instid1(VALU_DEP_1)
	v_lshlrev_b64_e32 v[55:56], 3, v[30:31]
	v_lshl_add_u32 v30, v42, 1, 0x168
	v_lshlrev_b64_e32 v[59:60], 3, v[30:31]
	v_lshlrev_b32_e32 v30, 1, v49
	s_delay_alu instid0(VALU_DEP_4) | instskip(SKIP_2) | instid1(VALU_DEP_4)
	v_add_co_u32 v55, s1, s8, v55
	s_wait_alu 0xf1ff
	v_add_co_ci_u32_e64 v56, s1, s9, v56, s1
	v_add_co_u32 v59, s1, s8, v59
	s_wait_alu 0xf1ff
	v_add_co_ci_u32_e64 v60, s1, s9, v60, s1
	s_clause 0x1
	global_load_b128 v[55:58], v[55:56], off offset:3760
	global_load_b128 v[59:62], v[59:60], off offset:3760
	s_wait_loadcnt_dscnt 0x208
	v_mul_f32_e32 v49, v52, v17
	s_wait_dscnt 0x7
	v_dual_mul_f32 v52, v52, v16 :: v_dual_mul_f32 v71, v54, v7
	v_lshlrev_b64_e32 v[63:64], 3, v[30:31]
	v_mul_f32_e32 v54, v54, v6
	v_fma_f32 v16, v51, v16, -v49
	v_lshlrev_b32_e32 v30, 1, v45
	v_add_nc_u32_e32 v45, 0x2000, v39
	v_fma_f32 v6, v53, v6, -v71
	v_add_co_u32 v63, s1, s8, v63
	s_wait_dscnt 0x2
	v_dual_fmac_f32 v54, v53, v7 :: v_dual_add_f32 v7, v36, v16
	v_lshlrev_b64_e32 v[67:68], 3, v[30:31]
	s_wait_alu 0xf1ff
	v_add_co_ci_u32_e64 v64, s1, s9, v64, s1
	v_dual_fmac_f32 v52, v51, v17 :: v_dual_sub_f32 v53, v16, v6
	v_dual_add_f32 v17, v16, v6 :: v_dual_add_nc_u32 v30, 0x1000, v39
	s_delay_alu instid0(VALU_DEP_4)
	v_add_co_u32 v67, s1, s8, v67
	global_load_b128 v[63:66], v[63:64], off offset:3760
	s_wait_alu 0xf1ff
	v_add_co_ci_u32_e64 v68, s1, s9, v68, s1
	v_sub_f32_e32 v49, v52, v54
	v_dual_add_f32 v51, v37, v52 :: v_dual_add_f32 v52, v52, v54
	global_load_b128 v[67:70], v[67:68], off offset:3760
	v_add_f32_e32 v6, v7, v6
	v_fma_f32 v36, -0.5, v17, v36
	v_add_f32_e32 v7, v51, v54
	v_fmac_f32_e32 v37, -0.5, v52
	s_wait_loadcnt 0x3
	v_mul_f32_e32 v51, v56, v19
	v_mul_f32_e32 v52, v56, v18
	;; [unrolled: 1-line block ×3, first 2 shown]
	v_dual_mul_f32 v56, v58, v20 :: v_dual_fmamk_f32 v17, v53, 0xbf5db3d7, v37
	v_dual_fmamk_f32 v16, v49, 0x3f5db3d7, v36 :: v_dual_fmac_f32 v37, 0x3f5db3d7, v53
	v_fmac_f32_e32 v36, 0xbf5db3d7, v49
	v_fma_f32 v18, v55, v18, -v51
	s_wait_loadcnt 0x2
	v_dual_fmac_f32 v52, v55, v19 :: v_dual_mul_f32 v51, v62, v22
	v_fma_f32 v19, v57, v20, -v54
	v_dual_fmac_f32 v56, v57, v21 :: v_dual_mul_f32 v49, v62, v23
	s_delay_alu instid0(VALU_DEP_3)
	v_dual_mul_f32 v20, v60, v13 :: v_dual_fmac_f32 v51, v61, v23
	v_mul_f32_e32 v21, v60, v12
	global_wb scope:SCOPE_SE
	s_wait_loadcnt_dscnt 0x0
	s_barrier_signal -1
	s_barrier_wait -1
	global_inv scope:SCOPE_SE
	ds_store_b64 v48, v[6:7]
	ds_store_b64 v48, v[16:17] offset:3840
	ds_store_b64 v48, v[36:37] offset:7680
	v_fma_f32 v12, v59, v12, -v20
	v_dual_fmac_f32 v21, v59, v13 :: v_dual_add_f32 v20, v34, v18
	v_sub_f32_e32 v23, v52, v56
	v_add_f32_e32 v37, v52, v56
	v_fma_f32 v13, v61, v22, -v49
	v_add_f32_e32 v36, v35, v52
	v_add_f32_e32 v22, v18, v19
	s_delay_alu instid0(VALU_DEP_4) | instskip(NEXT) | instid1(VALU_DEP_2)
	v_dual_sub_f32 v18, v18, v19 :: v_dual_fmac_f32 v35, -0.5, v37
	v_fma_f32 v34, -0.5, v22, v34
	v_dual_mul_f32 v6, v64, v15 :: v_dual_mul_f32 v7, v9, v66
	v_mul_f32_e32 v17, v8, v66
	v_mul_f32_e32 v16, v64, v14
	v_sub_f32_e32 v22, v21, v51
	s_delay_alu instid0(VALU_DEP_4) | instskip(SKIP_1) | instid1(VALU_DEP_4)
	v_fma_f32 v14, v63, v14, -v6
	v_mul_f32_e32 v49, v4, v68
	v_dual_fmac_f32 v17, v9, v65 :: v_dual_fmac_f32 v16, v63, v15
	v_fma_f32 v15, v8, v65, -v7
	v_dual_mul_f32 v52, v10, v70 :: v_dual_add_f32 v7, v36, v56
	v_add_f32_e32 v6, v20, v19
	v_dual_mul_f32 v8, v5, v68 :: v_dual_mul_f32 v9, v11, v70
	v_add_f32_e32 v19, v0, v12
	v_add_f32_e32 v20, v12, v13
	;; [unrolled: 1-line block ×3, first 2 shown]
	v_dual_add_f32 v21, v21, v51 :: v_dual_sub_f32 v12, v12, v13
	v_dual_fmac_f32 v49, v5, v67 :: v_dual_fmac_f32 v52, v11, v69
	v_fmamk_f32 v5, v18, 0xbf5db3d7, v35
	v_dual_fmac_f32 v35, 0x3f5db3d7, v18 :: v_dual_add_f32 v18, v14, v15
	v_fma_f32 v37, v4, v67, -v8
	v_fma_f32 v53, v10, v69, -v9
	v_dual_fmamk_f32 v4, v23, 0x3f5db3d7, v34 :: v_dual_add_f32 v9, v36, v51
	v_fmac_f32_e32 v34, 0xbf5db3d7, v23
	v_fma_f32 v0, -0.5, v20, v0
	v_fma_f32 v1, -0.5, v21, v1
	v_dual_add_f32 v8, v19, v13 :: v_dual_add_f32 v13, v2, v14
	v_dual_sub_f32 v19, v16, v17 :: v_dual_add_f32 v20, v3, v16
	v_add_f32_e32 v16, v16, v17
	v_fma_f32 v2, -0.5, v18, v2
	v_dual_sub_f32 v14, v14, v15 :: v_dual_fmamk_f32 v11, v12, 0xbf5db3d7, v1
	v_dual_fmac_f32 v1, 0x3f5db3d7, v12 :: v_dual_fmamk_f32 v10, v22, 0x3f5db3d7, v0
	s_delay_alu instid0(VALU_DEP_4)
	v_dual_fmac_f32 v3, -0.5, v16 :: v_dual_add_f32 v12, v13, v15
	v_add_f32_e32 v15, v32, v37
	v_add_f32_e32 v13, v20, v17
	;; [unrolled: 1-line block ×3, first 2 shown]
	v_sub_f32_e32 v21, v37, v53
	ds_store_b64 v38, v[6:7]
	ds_store_b64 v38, v[4:5] offset:3840
	ds_store_b64 v38, v[34:35] offset:7680
	v_fmamk_f32 v4, v19, 0x3f5db3d7, v2
	v_add_f32_e32 v20, v49, v52
	v_add_f32_e32 v18, v33, v49
	v_dual_fmac_f32 v0, 0xbf5db3d7, v22 :: v_dual_sub_f32 v17, v49, v52
	v_fmamk_f32 v5, v14, 0xbf5db3d7, v3
	v_fmac_f32_e32 v3, 0x3f5db3d7, v14
	v_fma_f32 v32, -0.5, v16, v32
	v_dual_fmac_f32 v33, -0.5, v20 :: v_dual_fmac_f32 v2, 0xbf5db3d7, v19
	v_dual_add_f32 v7, v18, v52 :: v_dual_add_f32 v6, v15, v53
	ds_store_2addr_b64 v50, v[8:9], v[12:13] offset0:52 offset1:142
	v_fmamk_f32 v9, v21, 0xbf5db3d7, v33
	v_fmamk_f32 v8, v17, 0x3f5db3d7, v32
	v_fmac_f32_e32 v32, 0xbf5db3d7, v17
	v_fmac_f32_e32 v33, 0x3f5db3d7, v21
	ds_store_2addr_b64 v30, v[10:11], v[4:5] offset0:148 offset1:238
	ds_store_2addr_b64 v45, v[0:1], v[2:3] offset0:116 offset1:206
	ds_store_b64 v39, v[6:7] offset:2880
	ds_store_b64 v39, v[8:9] offset:6720
	;; [unrolled: 1-line block ×3, first 2 shown]
	s_and_saveexec_b32 s1, s0
	s_cbranch_execz .LBB0_23
; %bb.22:
	v_subrev_nc_u32_e32 v0, 30, v42
	s_delay_alu instid0(VALU_DEP_1) | instskip(NEXT) | instid1(VALU_DEP_1)
	v_cndmask_b32_e64 v0, v0, v43, s0
	v_lshlrev_b32_e32 v30, 1, v0
	s_delay_alu instid0(VALU_DEP_1) | instskip(NEXT) | instid1(VALU_DEP_1)
	v_lshlrev_b64_e32 v[0:1], 3, v[30:31]
	v_add_co_u32 v0, s0, s8, v0
	s_wait_alu 0xf1ff
	s_delay_alu instid0(VALU_DEP_2) | instskip(SKIP_4) | instid1(VALU_DEP_2)
	v_add_co_ci_u32_e64 v1, s0, s9, v1, s0
	global_load_b128 v[0:3], v[0:1], off offset:3760
	s_wait_loadcnt 0x0
	v_mul_f32_e32 v5, v28, v1
	v_dual_mul_f32 v4, v29, v1 :: v_dual_mul_f32 v1, v27, v3
	v_dual_mul_f32 v6, v26, v3 :: v_dual_fmac_f32 v5, v29, v0
	s_delay_alu instid0(VALU_DEP_2) | instskip(NEXT) | instid1(VALU_DEP_2)
	v_fma_f32 v3, v28, v0, -v4
	v_fmac_f32_e32 v6, v27, v2
	s_delay_alu instid0(VALU_DEP_4) | instskip(NEXT) | instid1(VALU_DEP_3)
	v_fma_f32 v2, v26, v2, -v1
	v_dual_add_f32 v8, v25, v5 :: v_dual_add_f32 v9, v24, v3
	s_delay_alu instid0(VALU_DEP_2) | instskip(NEXT) | instid1(VALU_DEP_4)
	v_sub_f32_e32 v4, v3, v2
	v_add_f32_e32 v0, v5, v6
	v_add_f32_e32 v7, v3, v2
	s_delay_alu instid0(VALU_DEP_4) | instskip(NEXT) | instid1(VALU_DEP_3)
	v_add_f32_e32 v2, v9, v2
	v_fma_f32 v1, -0.5, v0, v25
	v_sub_f32_e32 v10, v5, v6
	s_delay_alu instid0(VALU_DEP_4) | instskip(SKIP_1) | instid1(VALU_DEP_4)
	v_fma_f32 v0, -0.5, v7, v24
	v_add_f32_e32 v3, v8, v6
	v_fmamk_f32 v5, v4, 0x3f5db3d7, v1
	s_delay_alu instid0(VALU_DEP_3)
	v_dual_fmac_f32 v1, 0xbf5db3d7, v4 :: v_dual_fmamk_f32 v4, v10, 0xbf5db3d7, v0
	v_fmac_f32_e32 v0, 0x3f5db3d7, v10
	ds_store_b64 v48, v[2:3] offset:3600
	ds_store_b64 v48, v[0:1] offset:7440
	;; [unrolled: 1-line block ×3, first 2 shown]
.LBB0_23:
	s_wait_alu 0xfffe
	s_or_b32 exec_lo, exec_lo, s1
	global_wb scope:SCOPE_SE
	s_wait_dscnt 0x0
	s_barrier_signal -1
	s_barrier_wait -1
	global_inv scope:SCOPE_SE
	ds_load_b64 v[4:5], v48
	v_lshlrev_b32_e32 v0, 3, v42
	s_mov_b32 s1, exec_lo
                                        ; implicit-def: $vgpr7
                                        ; implicit-def: $vgpr8
                                        ; implicit-def: $vgpr2_vgpr3
	s_delay_alu instid0(VALU_DEP_1)
	v_sub_nc_u32_e32 v6, 0, v0
                                        ; implicit-def: $vgpr0
	v_cmpx_ne_u32_e32 0, v42
	s_wait_alu 0xfffe
	s_xor_b32 s1, exec_lo, s1
	s_cbranch_execz .LBB0_25
; %bb.24:
	ds_load_b64 v[2:3], v6 offset:11520
	s_wait_dscnt 0x0
	v_dual_mov_b32 v43, 0 :: v_dual_add_f32 v8, v3, v5
	s_delay_alu instid0(VALU_DEP_1) | instskip(SKIP_2) | instid1(VALU_DEP_2)
	v_lshlrev_b64_e32 v[0:1], 3, v[42:43]
	v_dual_sub_f32 v7, v4, v2 :: v_dual_add_f32 v2, v2, v4
	v_sub_f32_e32 v3, v5, v3
	v_mul_f32_e32 v5, 0.5, v7
	s_delay_alu instid0(VALU_DEP_4)
	v_add_co_u32 v0, s0, s8, v0
	s_wait_alu 0xf1ff
	v_add_co_ci_u32_e64 v1, s0, s9, v1, s0
	v_mul_f32_e32 v3, 0.5, v3
	global_load_b64 v[0:1], v[0:1], off offset:11440
	s_wait_loadcnt 0x0
	v_dual_mul_f32 v9, 0.5, v8 :: v_dual_mul_f32 v4, v1, v5
	s_delay_alu instid0(VALU_DEP_1) | instskip(SKIP_1) | instid1(VALU_DEP_3)
	v_fma_f32 v8, v9, v1, v3
	v_fma_f32 v1, v9, v1, -v3
	v_fma_f32 v7, 0.5, v2, v4
	v_fma_f32 v2, v2, 0.5, -v4
	s_delay_alu instid0(VALU_DEP_4) | instskip(NEXT) | instid1(VALU_DEP_4)
	v_fma_f32 v8, -v0, v5, v8
	v_fma_f32 v1, -v0, v5, v1
                                        ; implicit-def: $vgpr4_vgpr5
	s_delay_alu instid0(VALU_DEP_4) | instskip(NEXT) | instid1(VALU_DEP_4)
	v_fmac_f32_e32 v7, v0, v9
	v_fma_f32 v0, -v0, v9, v2
	v_dual_mov_b32 v2, v42 :: v_dual_mov_b32 v3, v43
.LBB0_25:
	s_wait_alu 0xfffe
	s_and_not1_saveexec_b32 s0, s1
	s_cbranch_execz .LBB0_27
; %bb.26:
	s_wait_dscnt 0x0
	v_dual_mov_b32 v8, 0 :: v_dual_add_f32 v7, v4, v5
	v_mov_b32_e32 v2, 0
	v_dual_sub_f32 v0, v4, v5 :: v_dual_mov_b32 v3, 0
	ds_load_b32 v1, v8 offset:5764
	s_wait_dscnt 0x0
	v_xor_b32_e32 v4, 0x80000000, v1
	v_mov_b32_e32 v1, 0
	ds_store_b32 v8, v4 offset:5764
.LBB0_27:
	s_wait_alu 0xfffe
	s_or_b32 exec_lo, exec_lo, s0
	v_mov_b32_e32 v45, 0
	v_lshlrev_b64_e32 v[2:3], 3, v[2:3]
	s_wait_dscnt 0x0
	s_delay_alu instid0(VALU_DEP_2) | instskip(NEXT) | instid1(VALU_DEP_1)
	v_lshlrev_b64_e32 v[4:5], 3, v[44:45]
	v_add_co_u32 v4, s0, s8, v4
	s_wait_alu 0xf1ff
	s_delay_alu instid0(VALU_DEP_2)
	v_add_co_ci_u32_e64 v5, s0, s9, v5, s0
	s_add_nc_u64 s[0:1], s[8:9], 0x2cb0
	s_wait_alu 0xfffe
	v_add_co_u32 v2, s0, s0, v2
	global_load_b64 v[4:5], v[4:5], off offset:11440
	s_wait_alu 0xf1ff
	v_add_co_ci_u32_e64 v3, s0, s1, v3, s0
	s_clause 0x4
	global_load_b64 v[9:10], v[2:3], off offset:1440
	global_load_b64 v[11:12], v[2:3], off offset:2160
	;; [unrolled: 1-line block ×5, first 2 shown]
	ds_store_2addr_b32 v48, v7, v8 offset1:1
	ds_store_b64 v6, v[0:1] offset:11520
	global_load_b64 v[0:1], v[2:3], off offset:5040
	ds_load_b64 v[2:3], v38
	ds_load_b64 v[7:8], v6 offset:10800
	s_wait_dscnt 0x0
	v_dual_add_f32 v20, v3, v8 :: v_dual_sub_f32 v19, v2, v7
	v_dual_sub_f32 v3, v3, v8 :: v_dual_add_f32 v2, v2, v7
	s_delay_alu instid0(VALU_DEP_2) | instskip(NEXT) | instid1(VALU_DEP_2)
	v_dual_mul_f32 v8, 0.5, v19 :: v_dual_mul_f32 v19, 0.5, v20
	v_mul_f32_e32 v3, 0.5, v3
	s_wait_loadcnt 0x6
	s_delay_alu instid0(VALU_DEP_2) | instskip(NEXT) | instid1(VALU_DEP_2)
	v_mul_f32_e32 v7, v5, v8
	v_fma_f32 v20, v19, v5, v3
	v_fma_f32 v3, v19, v5, -v3
	s_delay_alu instid0(VALU_DEP_3) | instskip(SKIP_1) | instid1(VALU_DEP_4)
	v_fma_f32 v5, 0.5, v2, v7
	v_fma_f32 v2, v2, 0.5, -v7
	v_fma_f32 v7, -v4, v8, v20
	s_delay_alu instid0(VALU_DEP_4) | instskip(NEXT) | instid1(VALU_DEP_4)
	v_fma_f32 v3, -v4, v8, v3
	v_fmac_f32_e32 v5, v4, v19
	s_delay_alu instid0(VALU_DEP_4)
	v_fma_f32 v2, -v4, v19, v2
	ds_store_2addr_b32 v38, v5, v7 offset1:1
	ds_store_b64 v6, v[2:3] offset:10800
	ds_load_b64 v[2:3], v39 offset:1440
	ds_load_b64 v[4:5], v6 offset:10080
	s_wait_dscnt 0x0
	v_dual_sub_f32 v7, v2, v4 :: v_dual_add_f32 v8, v3, v5
	v_dual_sub_f32 v3, v3, v5 :: v_dual_add_f32 v2, v2, v4
	s_delay_alu instid0(VALU_DEP_2) | instskip(NEXT) | instid1(VALU_DEP_3)
	v_mul_f32_e32 v5, 0.5, v7
	v_mul_f32_e32 v7, 0.5, v8
	s_wait_loadcnt 0x5
	s_delay_alu instid0(VALU_DEP_2) | instskip(NEXT) | instid1(VALU_DEP_1)
	v_dual_mul_f32 v3, 0.5, v3 :: v_dual_mul_f32 v4, v10, v5
	v_fma_f32 v8, v7, v10, v3
	v_fma_f32 v3, v7, v10, -v3
	s_delay_alu instid0(VALU_DEP_3) | instskip(SKIP_1) | instid1(VALU_DEP_4)
	v_fma_f32 v10, 0.5, v2, v4
	v_fma_f32 v2, v2, 0.5, -v4
	v_fma_f32 v4, -v9, v5, v8
	s_delay_alu instid0(VALU_DEP_4) | instskip(NEXT) | instid1(VALU_DEP_4)
	v_fma_f32 v3, -v9, v5, v3
	v_fmac_f32_e32 v10, v9, v7
	s_delay_alu instid0(VALU_DEP_4)
	v_fma_f32 v2, -v9, v7, v2
	ds_store_b32 v39, v4 offset:1444
	ds_store_b32 v6, v3 offset:10084
	;; [unrolled: 1-line block ×4, first 2 shown]
	ds_load_b64 v[2:3], v39 offset:2160
	ds_load_b64 v[4:5], v6 offset:9360
	v_add_nc_u32_e32 v10, 0x1000, v48
	s_wait_dscnt 0x0
	v_dual_sub_f32 v7, v2, v4 :: v_dual_add_f32 v8, v3, v5
	v_dual_sub_f32 v3, v3, v5 :: v_dual_add_f32 v2, v2, v4
	s_delay_alu instid0(VALU_DEP_2) | instskip(NEXT) | instid1(VALU_DEP_3)
	v_mul_f32_e32 v5, 0.5, v7
	v_mul_f32_e32 v7, 0.5, v8
	s_wait_loadcnt 0x4
	s_delay_alu instid0(VALU_DEP_2) | instskip(NEXT) | instid1(VALU_DEP_1)
	v_dual_mul_f32 v3, 0.5, v3 :: v_dual_mul_f32 v4, v12, v5
	v_fma_f32 v8, v7, v12, v3
	v_fma_f32 v3, v7, v12, -v3
	s_delay_alu instid0(VALU_DEP_3) | instskip(SKIP_1) | instid1(VALU_DEP_4)
	v_fma_f32 v9, 0.5, v2, v4
	v_fma_f32 v2, v2, 0.5, -v4
	v_fma_f32 v4, -v11, v5, v8
	s_delay_alu instid0(VALU_DEP_4) | instskip(NEXT) | instid1(VALU_DEP_4)
	v_fma_f32 v3, -v11, v5, v3
	v_fmac_f32_e32 v9, v11, v7
	s_delay_alu instid0(VALU_DEP_4)
	v_fma_f32 v2, -v11, v7, v2
	ds_store_b32 v39, v4 offset:2164
	ds_store_b32 v6, v3 offset:9364
	ds_store_b32 v39, v9 offset:2160
	ds_store_b32 v6, v2 offset:9360
	ds_load_b64 v[2:3], v39 offset:2880
	ds_load_b64 v[4:5], v6 offset:8640
	s_wait_dscnt 0x0
	v_dual_sub_f32 v7, v2, v4 :: v_dual_add_f32 v8, v3, v5
	v_dual_sub_f32 v3, v3, v5 :: v_dual_add_f32 v2, v2, v4
	s_delay_alu instid0(VALU_DEP_2) | instskip(NEXT) | instid1(VALU_DEP_3)
	v_mul_f32_e32 v5, 0.5, v7
	v_mul_f32_e32 v7, 0.5, v8
	s_wait_loadcnt 0x3
	s_delay_alu instid0(VALU_DEP_2) | instskip(NEXT) | instid1(VALU_DEP_1)
	v_dual_mul_f32 v3, 0.5, v3 :: v_dual_mul_f32 v4, v14, v5
	v_fma_f32 v8, v7, v14, v3
	v_fma_f32 v3, v7, v14, -v3
	s_delay_alu instid0(VALU_DEP_3) | instskip(SKIP_1) | instid1(VALU_DEP_4)
	v_fma_f32 v9, 0.5, v2, v4
	v_fma_f32 v2, v2, 0.5, -v4
	v_fma_f32 v4, -v13, v5, v8
	s_delay_alu instid0(VALU_DEP_4) | instskip(NEXT) | instid1(VALU_DEP_4)
	v_fma_f32 v3, -v13, v5, v3
	v_fmac_f32_e32 v9, v13, v7
	s_delay_alu instid0(VALU_DEP_4)
	v_fma_f32 v2, -v13, v7, v2
	ds_store_b32 v39, v4 offset:2884
	ds_store_b32 v6, v3 offset:8644
	ds_store_b32 v39, v9 offset:2880
	ds_store_b32 v6, v2 offset:8640
	ds_load_b64 v[2:3], v39 offset:3600
	ds_load_b64 v[4:5], v6 offset:7920
	;; [unrolled: 26-line block ×3, first 2 shown]
	s_wait_dscnt 0x0
	v_dual_sub_f32 v7, v2, v4 :: v_dual_add_f32 v8, v3, v5
	v_dual_sub_f32 v3, v3, v5 :: v_dual_add_f32 v2, v2, v4
	s_delay_alu instid0(VALU_DEP_2) | instskip(NEXT) | instid1(VALU_DEP_3)
	v_mul_f32_e32 v5, 0.5, v7
	v_mul_f32_e32 v7, 0.5, v8
	s_wait_loadcnt 0x1
	s_delay_alu instid0(VALU_DEP_2) | instskip(NEXT) | instid1(VALU_DEP_1)
	v_dual_mul_f32 v3, 0.5, v3 :: v_dual_mul_f32 v4, v18, v5
	v_fma_f32 v8, v7, v18, v3
	v_fma_f32 v3, v7, v18, -v3
	s_delay_alu instid0(VALU_DEP_3) | instskip(SKIP_1) | instid1(VALU_DEP_4)
	v_fma_f32 v9, 0.5, v2, v4
	v_fma_f32 v2, v2, 0.5, -v4
	v_fma_f32 v4, -v17, v5, v8
	s_delay_alu instid0(VALU_DEP_4) | instskip(NEXT) | instid1(VALU_DEP_4)
	v_fma_f32 v3, -v17, v5, v3
	v_fmac_f32_e32 v9, v17, v7
	s_delay_alu instid0(VALU_DEP_4)
	v_fma_f32 v2, -v17, v7, v2
	ds_store_2addr_b32 v10, v9, v4 offset0:56 offset1:57
	ds_store_b64 v6, v[2:3] offset:7200
	ds_load_b64 v[2:3], v48 offset:5040
	ds_load_b64 v[4:5], v6 offset:6480
	s_wait_dscnt 0x0
	v_dual_sub_f32 v7, v2, v4 :: v_dual_add_f32 v8, v3, v5
	v_dual_sub_f32 v3, v3, v5 :: v_dual_add_f32 v2, v2, v4
	s_delay_alu instid0(VALU_DEP_2) | instskip(NEXT) | instid1(VALU_DEP_3)
	v_mul_f32_e32 v5, 0.5, v7
	v_mul_f32_e32 v7, 0.5, v8
	s_wait_loadcnt 0x0
	s_delay_alu instid0(VALU_DEP_2) | instskip(NEXT) | instid1(VALU_DEP_1)
	v_dual_mul_f32 v3, 0.5, v3 :: v_dual_mul_f32 v4, v1, v5
	v_fma_f32 v8, v7, v1, v3
	v_fma_f32 v1, v7, v1, -v3
	s_delay_alu instid0(VALU_DEP_3) | instskip(SKIP_1) | instid1(VALU_DEP_4)
	v_fma_f32 v3, 0.5, v2, v4
	v_fma_f32 v2, v2, 0.5, -v4
	v_fma_f32 v4, -v0, v5, v8
	s_delay_alu instid0(VALU_DEP_4) | instskip(NEXT) | instid1(VALU_DEP_4)
	v_fma_f32 v1, -v0, v5, v1
	v_fmac_f32_e32 v3, v0, v7
	s_delay_alu instid0(VALU_DEP_4)
	v_fma_f32 v0, -v0, v7, v2
	ds_store_2addr_b32 v10, v3, v4 offset0:236 offset1:237
	ds_store_b64 v6, v[0:1] offset:6480
	global_wb scope:SCOPE_SE
	s_wait_dscnt 0x0
	s_barrier_signal -1
	s_barrier_wait -1
	global_inv scope:SCOPE_SE
	s_and_saveexec_b32 s0, vcc_lo
	s_cbranch_execz .LBB0_30
; %bb.28:
	v_mul_lo_u32 v2, s3, v46
	v_mul_lo_u32 v3, s2, v47
	v_mad_co_u64_u32 v[0:1], null, s2, v46, 0
	v_lshl_add_u32 v20, v42, 3, 0
	v_dual_mov_b32 v43, v45 :: v_dual_add_nc_u32 v44, 0x5a, v42
	v_lshlrev_b64_e32 v[10:11], 3, v[40:41]
	s_delay_alu instid0(VALU_DEP_3) | instskip(SKIP_1) | instid1(VALU_DEP_4)
	v_add_nc_u32_e32 v6, 0x400, v20
	v_add3_u32 v1, v1, v3, v2
	v_lshlrev_b64_e32 v[12:13], 3, v[42:43]
	ds_load_2addr_b64 v[2:5], v20 offset1:90
	v_lshlrev_b64_e32 v[14:15], 3, v[44:45]
	v_add_nc_u32_e32 v44, 0xb4, v42
	v_lshlrev_b64_e32 v[0:1], 3, v[0:1]
	ds_load_2addr_b64 v[6:9], v6 offset0:52 offset1:142
	v_add_nc_u32_e32 v21, 0x800, v20
	v_lshlrev_b64_e32 v[16:17], 3, v[44:45]
	v_add_nc_u32_e32 v44, 0x10e, v42
	v_add_co_u32 v0, vcc_lo, s6, v0
	s_wait_alu 0xfffd
	v_add_co_ci_u32_e32 v1, vcc_lo, s7, v1, vcc_lo
	s_delay_alu instid0(VALU_DEP_2) | instskip(SKIP_1) | instid1(VALU_DEP_2)
	v_add_co_u32 v0, vcc_lo, v0, v10
	s_wait_alu 0xfffd
	v_add_co_ci_u32_e32 v1, vcc_lo, v1, v11, vcc_lo
	s_delay_alu instid0(VALU_DEP_2) | instskip(SKIP_1) | instid1(VALU_DEP_2)
	v_add_co_u32 v10, vcc_lo, v0, v12
	s_wait_alu 0xfffd
	v_add_co_ci_u32_e32 v11, vcc_lo, v1, v13, vcc_lo
	v_add_co_u32 v12, vcc_lo, v0, v14
	s_wait_alu 0xfffd
	v_add_co_ci_u32_e32 v13, vcc_lo, v1, v15, vcc_lo
	v_lshlrev_b64_e32 v[14:15], 3, v[44:45]
	v_add_co_u32 v16, vcc_lo, v0, v16
	v_add_nc_u32_e32 v44, 0x168, v42
	s_wait_alu 0xfffd
	v_add_co_ci_u32_e32 v17, vcc_lo, v1, v17, vcc_lo
	s_delay_alu instid0(VALU_DEP_4)
	v_add_co_u32 v14, vcc_lo, v0, v14
	s_wait_alu 0xfffd
	v_add_co_ci_u32_e32 v15, vcc_lo, v1, v15, vcc_lo
	v_lshlrev_b64_e32 v[18:19], 3, v[44:45]
	v_add_nc_u32_e32 v44, 0x1c2, v42
	s_wait_dscnt 0x1
	s_clause 0x1
	global_store_b64 v[10:11], v[2:3], off
	global_store_b64 v[12:13], v[4:5], off
	s_wait_dscnt 0x0
	s_clause 0x1
	global_store_b64 v[16:17], v[6:7], off
	global_store_b64 v[14:15], v[8:9], off
	v_add_nc_u32_e32 v6, 0x1000, v20
	ds_load_2addr_b64 v[2:5], v21 offset0:104 offset1:194
	v_add_nc_u32_e32 v21, 0x1400, v20
	v_lshlrev_b64_e32 v[10:11], 3, v[44:45]
	v_add_nc_u32_e32 v44, 0x21c, v42
	ds_load_2addr_b64 v[6:9], v6 offset0:28 offset1:118
	v_add_co_u32 v12, vcc_lo, v0, v18
	s_wait_alu 0xfffd
	v_add_co_ci_u32_e32 v13, vcc_lo, v1, v19, vcc_lo
	v_lshlrev_b64_e32 v[14:15], 3, v[44:45]
	v_add_nc_u32_e32 v44, 0x276, v42
	v_add_co_u32 v10, vcc_lo, v0, v10
	s_wait_alu 0xfffd
	v_add_co_ci_u32_e32 v11, vcc_lo, v1, v11, vcc_lo
	s_delay_alu instid0(VALU_DEP_3) | instskip(SKIP_4) | instid1(VALU_DEP_4)
	v_lshlrev_b64_e32 v[16:17], 3, v[44:45]
	v_add_co_u32 v14, vcc_lo, v0, v14
	v_add_nc_u32_e32 v44, 0x2d0, v42
	s_wait_alu 0xfffd
	v_add_co_ci_u32_e32 v15, vcc_lo, v1, v15, vcc_lo
	v_add_co_u32 v16, vcc_lo, v0, v16
	s_wait_alu 0xfffd
	v_add_co_ci_u32_e32 v17, vcc_lo, v1, v17, vcc_lo
	v_lshlrev_b64_e32 v[18:19], 3, v[44:45]
	v_add_nc_u32_e32 v44, 0x32a, v42
	s_wait_dscnt 0x1
	s_clause 0x1
	global_store_b64 v[12:13], v[2:3], off
	global_store_b64 v[10:11], v[4:5], off
	s_wait_dscnt 0x0
	s_clause 0x1
	global_store_b64 v[14:15], v[6:7], off
	global_store_b64 v[16:17], v[8:9], off
	v_add_nc_u32_e32 v6, 0x1800, v20
	ds_load_2addr_b64 v[2:5], v21 offset0:80 offset1:170
	v_add_nc_u32_e32 v21, 0x2000, v20
	v_lshlrev_b64_e32 v[10:11], 3, v[44:45]
	v_add_nc_u32_e32 v44, 0x384, v42
	ds_load_2addr_b64 v[6:9], v6 offset0:132 offset1:222
	v_add_co_u32 v12, vcc_lo, v0, v18
	s_wait_alu 0xfffd
	v_add_co_ci_u32_e32 v13, vcc_lo, v1, v19, vcc_lo
	v_lshlrev_b64_e32 v[14:15], 3, v[44:45]
	v_add_nc_u32_e32 v44, 0x3de, v42
	v_add_co_u32 v10, vcc_lo, v0, v10
	s_wait_alu 0xfffd
	v_add_co_ci_u32_e32 v11, vcc_lo, v1, v11, vcc_lo
	s_delay_alu instid0(VALU_DEP_3) | instskip(SKIP_4) | instid1(VALU_DEP_3)
	v_lshlrev_b64_e32 v[16:17], 3, v[44:45]
	v_add_nc_u32_e32 v44, 0x438, v42
	v_add_co_u32 v14, vcc_lo, v0, v14
	s_wait_alu 0xfffd
	v_add_co_ci_u32_e32 v15, vcc_lo, v1, v15, vcc_lo
	v_lshlrev_b64_e32 v[18:19], 3, v[44:45]
	v_add_nc_u32_e32 v44, 0x492, v42
	v_add_co_u32 v16, vcc_lo, v0, v16
	s_wait_alu 0xfffd
	v_add_co_ci_u32_e32 v17, vcc_lo, v1, v17, vcc_lo
	s_wait_dscnt 0x1
	s_clause 0x1
	global_store_b64 v[12:13], v[2:3], off
	global_store_b64 v[10:11], v[4:5], off
	s_wait_dscnt 0x0
	s_clause 0x1
	global_store_b64 v[14:15], v[6:7], off
	global_store_b64 v[16:17], v[8:9], off
	v_lshlrev_b64_e32 v[10:11], 3, v[44:45]
	v_add_nc_u32_e32 v44, 0x4ec, v42
	v_add_nc_u32_e32 v20, 0x2400, v20
	ds_load_2addr_b64 v[2:5], v21 offset0:56 offset1:146
	v_add_co_u32 v12, vcc_lo, v0, v18
	v_lshlrev_b64_e32 v[14:15], 3, v[44:45]
	v_add_nc_u32_e32 v44, 0x546, v42
	ds_load_2addr_b64 v[6:9], v20 offset0:108 offset1:198
	s_wait_alu 0xfffd
	v_add_co_ci_u32_e32 v13, vcc_lo, v1, v19, vcc_lo
	v_add_co_u32 v10, vcc_lo, v0, v10
	v_lshlrev_b64_e32 v[16:17], 3, v[44:45]
	s_wait_alu 0xfffd
	v_add_co_ci_u32_e32 v11, vcc_lo, v1, v11, vcc_lo
	v_add_co_u32 v14, vcc_lo, v0, v14
	s_wait_alu 0xfffd
	v_add_co_ci_u32_e32 v15, vcc_lo, v1, v15, vcc_lo
	v_add_co_u32 v16, vcc_lo, v0, v16
	s_wait_alu 0xfffd
	v_add_co_ci_u32_e32 v17, vcc_lo, v1, v17, vcc_lo
	v_cmp_eq_u32_e32 vcc_lo, 0x59, v42
	s_wait_dscnt 0x1
	s_clause 0x1
	global_store_b64 v[12:13], v[2:3], off
	global_store_b64 v[10:11], v[4:5], off
	s_wait_dscnt 0x0
	s_clause 0x1
	global_store_b64 v[14:15], v[6:7], off
	global_store_b64 v[16:17], v[8:9], off
	s_and_b32 exec_lo, exec_lo, vcc_lo
	s_cbranch_execz .LBB0_30
; %bb.29:
	v_mov_b32_e32 v2, 0
	ds_load_b64 v[2:3], v2 offset:11520
	s_wait_dscnt 0x0
	global_store_b64 v[0:1], v[2:3], off offset:11520
.LBB0_30:
	s_nop 0
	s_sendmsg sendmsg(MSG_DEALLOC_VGPRS)
	s_endpgm
	.section	.rodata,"a",@progbits
	.p2align	6, 0x0
	.amdhsa_kernel fft_rtc_fwd_len1440_factors_10_16_3_3_wgs_90_tpt_90_halfLds_sp_op_CI_CI_unitstride_sbrr_R2C_dirReg
		.amdhsa_group_segment_fixed_size 0
		.amdhsa_private_segment_fixed_size 0
		.amdhsa_kernarg_size 104
		.amdhsa_user_sgpr_count 2
		.amdhsa_user_sgpr_dispatch_ptr 0
		.amdhsa_user_sgpr_queue_ptr 0
		.amdhsa_user_sgpr_kernarg_segment_ptr 1
		.amdhsa_user_sgpr_dispatch_id 0
		.amdhsa_user_sgpr_private_segment_size 0
		.amdhsa_wavefront_size32 1
		.amdhsa_uses_dynamic_stack 0
		.amdhsa_enable_private_segment 0
		.amdhsa_system_sgpr_workgroup_id_x 1
		.amdhsa_system_sgpr_workgroup_id_y 0
		.amdhsa_system_sgpr_workgroup_id_z 0
		.amdhsa_system_sgpr_workgroup_info 0
		.amdhsa_system_vgpr_workitem_id 0
		.amdhsa_next_free_vgpr 91
		.amdhsa_next_free_sgpr 39
		.amdhsa_reserve_vcc 1
		.amdhsa_float_round_mode_32 0
		.amdhsa_float_round_mode_16_64 0
		.amdhsa_float_denorm_mode_32 3
		.amdhsa_float_denorm_mode_16_64 3
		.amdhsa_fp16_overflow 0
		.amdhsa_workgroup_processor_mode 1
		.amdhsa_memory_ordered 1
		.amdhsa_forward_progress 0
		.amdhsa_round_robin_scheduling 0
		.amdhsa_exception_fp_ieee_invalid_op 0
		.amdhsa_exception_fp_denorm_src 0
		.amdhsa_exception_fp_ieee_div_zero 0
		.amdhsa_exception_fp_ieee_overflow 0
		.amdhsa_exception_fp_ieee_underflow 0
		.amdhsa_exception_fp_ieee_inexact 0
		.amdhsa_exception_int_div_zero 0
	.end_amdhsa_kernel
	.text
.Lfunc_end0:
	.size	fft_rtc_fwd_len1440_factors_10_16_3_3_wgs_90_tpt_90_halfLds_sp_op_CI_CI_unitstride_sbrr_R2C_dirReg, .Lfunc_end0-fft_rtc_fwd_len1440_factors_10_16_3_3_wgs_90_tpt_90_halfLds_sp_op_CI_CI_unitstride_sbrr_R2C_dirReg
                                        ; -- End function
	.section	.AMDGPU.csdata,"",@progbits
; Kernel info:
; codeLenInByte = 11696
; NumSgprs: 41
; NumVgprs: 91
; ScratchSize: 0
; MemoryBound: 0
; FloatMode: 240
; IeeeMode: 1
; LDSByteSize: 0 bytes/workgroup (compile time only)
; SGPRBlocks: 5
; VGPRBlocks: 11
; NumSGPRsForWavesPerEU: 41
; NumVGPRsForWavesPerEU: 91
; Occupancy: 16
; WaveLimiterHint : 1
; COMPUTE_PGM_RSRC2:SCRATCH_EN: 0
; COMPUTE_PGM_RSRC2:USER_SGPR: 2
; COMPUTE_PGM_RSRC2:TRAP_HANDLER: 0
; COMPUTE_PGM_RSRC2:TGID_X_EN: 1
; COMPUTE_PGM_RSRC2:TGID_Y_EN: 0
; COMPUTE_PGM_RSRC2:TGID_Z_EN: 0
; COMPUTE_PGM_RSRC2:TIDIG_COMP_CNT: 0
	.text
	.p2alignl 7, 3214868480
	.fill 96, 4, 3214868480
	.type	__hip_cuid_7687545cf7b584ec,@object ; @__hip_cuid_7687545cf7b584ec
	.section	.bss,"aw",@nobits
	.globl	__hip_cuid_7687545cf7b584ec
__hip_cuid_7687545cf7b584ec:
	.byte	0                               ; 0x0
	.size	__hip_cuid_7687545cf7b584ec, 1

	.ident	"AMD clang version 19.0.0git (https://github.com/RadeonOpenCompute/llvm-project roc-6.4.0 25133 c7fe45cf4b819c5991fe208aaa96edf142730f1d)"
	.section	".note.GNU-stack","",@progbits
	.addrsig
	.addrsig_sym __hip_cuid_7687545cf7b584ec
	.amdgpu_metadata
---
amdhsa.kernels:
  - .args:
      - .actual_access:  read_only
        .address_space:  global
        .offset:         0
        .size:           8
        .value_kind:     global_buffer
      - .offset:         8
        .size:           8
        .value_kind:     by_value
      - .actual_access:  read_only
        .address_space:  global
        .offset:         16
        .size:           8
        .value_kind:     global_buffer
      - .actual_access:  read_only
        .address_space:  global
        .offset:         24
        .size:           8
        .value_kind:     global_buffer
      - .actual_access:  read_only
        .address_space:  global
        .offset:         32
        .size:           8
        .value_kind:     global_buffer
      - .offset:         40
        .size:           8
        .value_kind:     by_value
      - .actual_access:  read_only
        .address_space:  global
        .offset:         48
        .size:           8
        .value_kind:     global_buffer
      - .actual_access:  read_only
        .address_space:  global
        .offset:         56
        .size:           8
        .value_kind:     global_buffer
      - .offset:         64
        .size:           4
        .value_kind:     by_value
      - .actual_access:  read_only
        .address_space:  global
        .offset:         72
        .size:           8
        .value_kind:     global_buffer
      - .actual_access:  read_only
        .address_space:  global
        .offset:         80
        .size:           8
        .value_kind:     global_buffer
      - .actual_access:  read_only
        .address_space:  global
        .offset:         88
        .size:           8
        .value_kind:     global_buffer
      - .actual_access:  write_only
        .address_space:  global
        .offset:         96
        .size:           8
        .value_kind:     global_buffer
    .group_segment_fixed_size: 0
    .kernarg_segment_align: 8
    .kernarg_segment_size: 104
    .language:       OpenCL C
    .language_version:
      - 2
      - 0
    .max_flat_workgroup_size: 90
    .name:           fft_rtc_fwd_len1440_factors_10_16_3_3_wgs_90_tpt_90_halfLds_sp_op_CI_CI_unitstride_sbrr_R2C_dirReg
    .private_segment_fixed_size: 0
    .sgpr_count:     41
    .sgpr_spill_count: 0
    .symbol:         fft_rtc_fwd_len1440_factors_10_16_3_3_wgs_90_tpt_90_halfLds_sp_op_CI_CI_unitstride_sbrr_R2C_dirReg.kd
    .uniform_work_group_size: 1
    .uses_dynamic_stack: false
    .vgpr_count:     91
    .vgpr_spill_count: 0
    .wavefront_size: 32
    .workgroup_processor_mode: 1
amdhsa.target:   amdgcn-amd-amdhsa--gfx1201
amdhsa.version:
  - 1
  - 2
...

	.end_amdgpu_metadata
